;; amdgpu-corpus repo=ROCm/rocFFT kind=compiled arch=gfx950 opt=O3
	.text
	.amdgcn_target "amdgcn-amd-amdhsa--gfx950"
	.amdhsa_code_object_version 6
	.protected	fft_rtc_back_len840_factors_2_2_2_3_5_7_wgs_56_tpt_56_halfLds_dp_op_CI_CI_unitstride_sbrr_dirReg ; -- Begin function fft_rtc_back_len840_factors_2_2_2_3_5_7_wgs_56_tpt_56_halfLds_dp_op_CI_CI_unitstride_sbrr_dirReg
	.globl	fft_rtc_back_len840_factors_2_2_2_3_5_7_wgs_56_tpt_56_halfLds_dp_op_CI_CI_unitstride_sbrr_dirReg
	.p2align	8
	.type	fft_rtc_back_len840_factors_2_2_2_3_5_7_wgs_56_tpt_56_halfLds_dp_op_CI_CI_unitstride_sbrr_dirReg,@function
fft_rtc_back_len840_factors_2_2_2_3_5_7_wgs_56_tpt_56_halfLds_dp_op_CI_CI_unitstride_sbrr_dirReg: ; @fft_rtc_back_len840_factors_2_2_2_3_5_7_wgs_56_tpt_56_halfLds_dp_op_CI_CI_unitstride_sbrr_dirReg
; %bb.0:
	s_load_dwordx4 s[8:11], s[0:1], 0x58
	s_load_dwordx4 s[4:7], s[0:1], 0x0
	;; [unrolled: 1-line block ×3, first 2 shown]
	v_mul_u32_u24_e32 v1, 0x493, v0
	v_add_u32_sdwa v6, s2, v1 dst_sel:DWORD dst_unused:UNUSED_PAD src0_sel:DWORD src1_sel:WORD_1
	v_mov_b32_e32 v2, 0
	s_waitcnt lgkmcnt(0)
	v_cmp_lt_u64_e64 s[2:3], s[6:7], 2
	v_mov_b32_e32 v7, v2
	s_and_b64 vcc, exec, s[2:3]
	v_mov_b64_e32 v[4:5], 0
	s_cbranch_vccnz .LBB0_8
; %bb.1:
	s_load_dwordx2 s[2:3], s[0:1], 0x10
	s_add_u32 s16, s14, 8
	s_addc_u32 s17, s15, 0
	s_add_u32 s18, s12, 8
	s_addc_u32 s19, s13, 0
	s_waitcnt lgkmcnt(0)
	s_add_u32 s20, s2, 8
	v_mov_b64_e32 v[4:5], 0
	s_addc_u32 s21, s3, 0
	s_mov_b64 s[22:23], 1
	v_mov_b64_e32 v[120:121], v[4:5]
.LBB0_2:                                ; =>This Inner Loop Header: Depth=1
	s_load_dwordx2 s[24:25], s[20:21], 0x0
                                        ; implicit-def: $vgpr104_vgpr105
	s_waitcnt lgkmcnt(0)
	v_or_b32_e32 v3, s25, v7
	v_cmp_ne_u64_e32 vcc, 0, v[2:3]
	s_and_saveexec_b64 s[2:3], vcc
	s_xor_b64 s[26:27], exec, s[2:3]
	s_cbranch_execz .LBB0_4
; %bb.3:                                ;   in Loop: Header=BB0_2 Depth=1
	v_cvt_f32_u32_e32 v1, s24
	v_cvt_f32_u32_e32 v3, s25
	s_sub_u32 s2, 0, s24
	s_subb_u32 s3, 0, s25
	v_fmac_f32_e32 v1, 0x4f800000, v3
	v_rcp_f32_e32 v1, v1
	s_nop 0
	v_mul_f32_e32 v1, 0x5f7ffffc, v1
	v_mul_f32_e32 v3, 0x2f800000, v1
	v_trunc_f32_e32 v3, v3
	v_fmac_f32_e32 v1, 0xcf800000, v3
	v_cvt_u32_f32_e32 v3, v3
	v_cvt_u32_f32_e32 v1, v1
	v_mul_lo_u32 v8, s2, v3
	v_mul_hi_u32 v10, s2, v1
	v_mul_lo_u32 v9, s3, v1
	v_add_u32_e32 v10, v10, v8
	v_mul_lo_u32 v12, s2, v1
	v_add_u32_e32 v13, v10, v9
	v_mul_hi_u32 v8, v1, v12
	v_mul_hi_u32 v11, v1, v13
	v_mul_lo_u32 v10, v1, v13
	v_mov_b32_e32 v9, v2
	v_lshl_add_u64 v[8:9], v[8:9], 0, v[10:11]
	v_mul_hi_u32 v11, v3, v12
	v_mul_lo_u32 v12, v3, v12
	v_add_co_u32_e32 v8, vcc, v8, v12
	v_mul_hi_u32 v10, v3, v13
	s_nop 0
	v_addc_co_u32_e32 v8, vcc, v9, v11, vcc
	v_mov_b32_e32 v9, v2
	s_nop 0
	v_addc_co_u32_e32 v11, vcc, 0, v10, vcc
	v_mul_lo_u32 v10, v3, v13
	v_lshl_add_u64 v[8:9], v[8:9], 0, v[10:11]
	v_add_co_u32_e32 v1, vcc, v1, v8
	v_mul_lo_u32 v10, s2, v1
	s_nop 0
	v_addc_co_u32_e32 v3, vcc, v3, v9, vcc
	v_mul_lo_u32 v8, s2, v3
	v_mul_hi_u32 v9, s2, v1
	v_add_u32_e32 v8, v9, v8
	v_mul_lo_u32 v9, s3, v1
	v_add_u32_e32 v12, v8, v9
	v_mul_hi_u32 v14, v3, v10
	v_mul_lo_u32 v15, v3, v10
	v_mul_hi_u32 v9, v1, v12
	v_mul_lo_u32 v8, v1, v12
	v_mul_hi_u32 v10, v1, v10
	v_mov_b32_e32 v11, v2
	v_lshl_add_u64 v[8:9], v[10:11], 0, v[8:9]
	v_add_co_u32_e32 v8, vcc, v8, v15
	v_mul_hi_u32 v13, v3, v12
	s_nop 0
	v_addc_co_u32_e32 v8, vcc, v9, v14, vcc
	v_mul_lo_u32 v10, v3, v12
	s_nop 0
	v_addc_co_u32_e32 v11, vcc, 0, v13, vcc
	v_mov_b32_e32 v9, v2
	v_lshl_add_u64 v[8:9], v[8:9], 0, v[10:11]
	v_add_co_u32_e32 v1, vcc, v1, v8
	v_mul_hi_u32 v10, v6, v1
	s_nop 0
	v_addc_co_u32_e32 v3, vcc, v3, v9, vcc
	v_mad_u64_u32 v[8:9], s[2:3], v6, v3, 0
	v_mov_b32_e32 v11, v2
	v_lshl_add_u64 v[8:9], v[10:11], 0, v[8:9]
	v_mad_u64_u32 v[12:13], s[2:3], v7, v1, 0
	v_add_co_u32_e32 v1, vcc, v8, v12
	v_mad_u64_u32 v[10:11], s[2:3], v7, v3, 0
	s_nop 0
	v_addc_co_u32_e32 v8, vcc, v9, v13, vcc
	v_mov_b32_e32 v9, v2
	s_nop 0
	v_addc_co_u32_e32 v11, vcc, 0, v11, vcc
	v_lshl_add_u64 v[8:9], v[8:9], 0, v[10:11]
	v_mul_lo_u32 v1, s25, v8
	v_mul_lo_u32 v3, s24, v9
	v_mad_u64_u32 v[10:11], s[2:3], s24, v8, 0
	v_add3_u32 v1, v11, v3, v1
	v_sub_u32_e32 v3, v7, v1
	v_mov_b32_e32 v11, s25
	v_sub_co_u32_e32 v14, vcc, v6, v10
	v_lshl_add_u64 v[12:13], v[8:9], 0, 1
	s_nop 0
	v_subb_co_u32_e64 v3, s[2:3], v3, v11, vcc
	v_subrev_co_u32_e64 v10, s[2:3], s24, v14
	v_subb_co_u32_e32 v1, vcc, v7, v1, vcc
	s_nop 0
	v_subbrev_co_u32_e64 v3, s[2:3], 0, v3, s[2:3]
	v_cmp_le_u32_e64 s[2:3], s25, v3
	v_cmp_le_u32_e32 vcc, s25, v1
	s_nop 0
	v_cndmask_b32_e64 v11, 0, -1, s[2:3]
	v_cmp_le_u32_e64 s[2:3], s24, v10
	s_nop 1
	v_cndmask_b32_e64 v10, 0, -1, s[2:3]
	v_cmp_eq_u32_e64 s[2:3], s25, v3
	s_nop 1
	v_cndmask_b32_e64 v3, v11, v10, s[2:3]
	v_lshl_add_u64 v[10:11], v[8:9], 0, 2
	v_cmp_ne_u32_e64 s[2:3], 0, v3
	s_nop 1
	v_cndmask_b32_e64 v3, v13, v11, s[2:3]
	v_cndmask_b32_e64 v11, 0, -1, vcc
	v_cmp_le_u32_e32 vcc, s24, v14
	s_nop 1
	v_cndmask_b32_e64 v13, 0, -1, vcc
	v_cmp_eq_u32_e32 vcc, s25, v1
	s_nop 1
	v_cndmask_b32_e32 v1, v11, v13, vcc
	v_cmp_ne_u32_e32 vcc, 0, v1
	v_cndmask_b32_e64 v1, v12, v10, s[2:3]
	s_nop 0
	v_cndmask_b32_e32 v105, v9, v3, vcc
	v_cndmask_b32_e32 v104, v8, v1, vcc
.LBB0_4:                                ;   in Loop: Header=BB0_2 Depth=1
	s_andn2_saveexec_b64 s[2:3], s[26:27]
	s_cbranch_execz .LBB0_6
; %bb.5:                                ;   in Loop: Header=BB0_2 Depth=1
	v_cvt_f32_u32_e32 v1, s24
	s_sub_i32 s26, 0, s24
	v_mov_b32_e32 v105, v2
	v_rcp_iflag_f32_e32 v1, v1
	s_nop 0
	v_mul_f32_e32 v1, 0x4f7ffffe, v1
	v_cvt_u32_f32_e32 v1, v1
	v_mul_lo_u32 v3, s26, v1
	v_mul_hi_u32 v3, v1, v3
	v_add_u32_e32 v1, v1, v3
	v_mul_hi_u32 v1, v6, v1
	v_mul_lo_u32 v3, v1, s24
	v_sub_u32_e32 v3, v6, v3
	v_add_u32_e32 v8, 1, v1
	v_subrev_u32_e32 v9, s24, v3
	v_cmp_le_u32_e32 vcc, s24, v3
	s_nop 1
	v_cndmask_b32_e32 v3, v3, v9, vcc
	v_cndmask_b32_e32 v1, v1, v8, vcc
	v_add_u32_e32 v8, 1, v1
	v_cmp_le_u32_e32 vcc, s24, v3
	s_nop 1
	v_cndmask_b32_e32 v104, v1, v8, vcc
.LBB0_6:                                ;   in Loop: Header=BB0_2 Depth=1
	s_or_b64 exec, exec, s[2:3]
	v_mad_u64_u32 v[8:9], s[2:3], v104, s24, 0
	s_load_dwordx2 s[2:3], s[18:19], 0x0
	v_mul_lo_u32 v1, v105, s24
	v_mul_lo_u32 v3, v104, s25
	s_load_dwordx2 s[24:25], s[16:17], 0x0
	s_add_u32 s22, s22, 1
	v_add3_u32 v1, v9, v3, v1
	v_sub_co_u32_e32 v3, vcc, v6, v8
	s_addc_u32 s23, s23, 0
	s_nop 0
	v_subb_co_u32_e32 v1, vcc, v7, v1, vcc
	s_add_u32 s16, s16, 8
	s_waitcnt lgkmcnt(0)
	v_mul_lo_u32 v6, s2, v1
	v_mul_lo_u32 v7, s3, v3
	v_mad_u64_u32 v[4:5], s[2:3], s2, v3, v[4:5]
	s_addc_u32 s17, s17, 0
	v_add3_u32 v5, v7, v5, v6
	v_mul_lo_u32 v1, s24, v1
	v_mul_lo_u32 v6, s25, v3
	v_mad_u64_u32 v[120:121], s[2:3], s24, v3, v[120:121]
	s_add_u32 s18, s18, 8
	v_add3_u32 v121, v6, v121, v1
	s_addc_u32 s19, s19, 0
	v_mov_b64_e32 v[6:7], s[6:7]
	s_add_u32 s20, s20, 8
	v_cmp_ge_u64_e32 vcc, s[22:23], v[6:7]
	s_addc_u32 s21, s21, 0
	s_cbranch_vccnz .LBB0_9
; %bb.7:                                ;   in Loop: Header=BB0_2 Depth=1
	v_mov_b64_e32 v[6:7], v[104:105]
	s_branch .LBB0_2
.LBB0_8:
	v_mov_b64_e32 v[120:121], v[4:5]
	v_mov_b64_e32 v[104:105], v[6:7]
.LBB0_9:
	s_load_dwordx2 s[18:19], s[0:1], 0x28
	s_lshl_b64 s[16:17], s[6:7], 3
	s_add_u32 s2, s14, s16
	s_addc_u32 s3, s15, s17
                                        ; implicit-def: $vgpr128
	s_waitcnt lgkmcnt(0)
	v_cmp_gt_u64_e64 s[0:1], s[18:19], v[104:105]
	v_cmp_le_u64_e32 vcc, s[18:19], v[104:105]
	s_and_saveexec_b64 s[6:7], vcc
	s_xor_b64 s[6:7], exec, s[6:7]
; %bb.10:
	s_mov_b32 s14, 0x4924925
	v_mul_hi_u32 v1, v0, s14
	v_mul_u32_u24_e32 v1, 56, v1
	v_sub_u32_e32 v128, v0, v1
                                        ; implicit-def: $vgpr0
                                        ; implicit-def: $vgpr4_vgpr5
; %bb.11:
	s_or_saveexec_b64 s[6:7], s[6:7]
	s_load_dwordx2 s[2:3], s[2:3], 0x0
                                        ; implicit-def: $vgpr62_vgpr63
                                        ; implicit-def: $vgpr58_vgpr59
                                        ; implicit-def: $vgpr46_vgpr47
                                        ; implicit-def: $vgpr34_vgpr35
                                        ; implicit-def: $vgpr50_vgpr51
                                        ; implicit-def: $vgpr22_vgpr23
                                        ; implicit-def: $vgpr42_vgpr43
                                        ; implicit-def: $vgpr30_vgpr31
                                        ; implicit-def: $vgpr26_vgpr27
                                        ; implicit-def: $vgpr10_vgpr11
                                        ; implicit-def: $vgpr18_vgpr19
                                        ; implicit-def: $vgpr14_vgpr15
                                        ; implicit-def: $vgpr38_vgpr39
                                        ; implicit-def: $vgpr6_vgpr7
                                        ; implicit-def: $vgpr66_vgpr67
                                        ; implicit-def: $vgpr2_vgpr3
	s_xor_b64 exec, exec, s[6:7]
	s_cbranch_execz .LBB0_15
; %bb.12:
	s_add_u32 s12, s12, s16
	s_addc_u32 s13, s13, s17
	s_load_dwordx2 s[12:13], s[12:13], 0x0
	s_mov_b32 s14, 0x4924925
                                        ; implicit-def: $vgpr60_vgpr61
	s_waitcnt lgkmcnt(0)
	v_mul_lo_u32 v1, s13, v104
	v_mul_lo_u32 v6, s12, v105
	v_mad_u64_u32 v[2:3], s[12:13], s12, v104, 0
	v_add3_u32 v3, v3, v6, v1
	v_mul_hi_u32 v1, v0, s14
	v_mul_u32_u24_e32 v1, 56, v1
	v_sub_u32_e32 v128, v0, v1
	v_lshl_add_u64 v[0:1], v[2:3], 4, s[8:9]
	v_lshl_add_u64 v[0:1], v[4:5], 4, v[0:1]
	v_lshlrev_b32_e32 v2, 4, v128
	v_mov_b32_e32 v3, 0
	v_lshl_add_u64 v[52:53], v[0:1], 0, v[2:3]
	s_movk_i32 s8, 0x1000
	v_add_co_u32_e32 v54, vcc, s8, v52
	s_movk_i32 s8, 0x2000
	s_nop 0
	v_addc_co_u32_e32 v55, vcc, 0, v53, vcc
	v_add_co_u32_e32 v56, vcc, s8, v52
	global_load_dwordx4 v[0:3], v[52:53], off
	global_load_dwordx4 v[4:7], v[52:53], off offset:896
	v_addc_co_u32_e32 v57, vcc, 0, v53, vcc
	global_load_dwordx4 v[36:39], v[54:55], off offset:3520
	global_load_dwordx4 v[16:19], v[56:57], off offset:320
	;; [unrolled: 1-line block ×12, first 2 shown]
	v_cmp_gt_u32_e32 vcc, 28, v128
                                        ; implicit-def: $vgpr56_vgpr57
	s_and_saveexec_b64 s[8:9], vcc
	s_cbranch_execz .LBB0_14
; %bb.13:
	v_add_co_u32_e32 v54, vcc, 0x1000, v52
	s_nop 1
	v_addc_co_u32_e32 v55, vcc, 0, v53, vcc
	v_add_co_u32_e32 v52, vcc, 0x3000, v52
	s_nop 1
	v_addc_co_u32_e32 v53, vcc, 0, v53, vcc
	global_load_dwordx4 v[56:59], v[54:55], off offset:2176
	global_load_dwordx4 v[60:63], v[52:53], off offset:704
.LBB0_14:
	s_or_b64 exec, exec, s[8:9]
.LBB0_15:
	s_or_b64 exec, exec, s[6:7]
	s_waitcnt vmcnt(3)
	v_add_f64 v[54:55], v[0:1], -v[64:65]
	v_fma_f64 v[52:53], v[0:1], 2.0, -v[54:55]
	v_lshl_add_u32 v64, v128, 4, 0
	ds_write_b128 v64, v[52:55]
	v_add_f64 v[54:55], v[4:5], -v[36:37]
	v_add_u32_e32 v98, 56, v128
	v_fma_f64 v[52:53], v[4:5], 2.0, -v[54:55]
	v_lshl_add_u32 v36, v98, 4, 0
	ds_write_b128 v36, v[52:55]
	v_add_f64 v[54:55], v[12:13], -v[16:17]
	v_add_u32_e32 v129, 0x70, v128
	;; [unrolled: 5-line block ×4, first 2 shown]
	v_fma_f64 v[52:53], v[28:29], 2.0, -v[54:55]
	v_lshl_add_u32 v13, v101, 4, 0
	ds_write_b128 v13, v[52:55]
	s_waitcnt vmcnt(1)
	v_add_f64 v[54:55], v[20:21], -v[48:49]
	v_add_u32_e32 v5, 0x118, v128
	v_fma_f64 v[52:53], v[20:21], 2.0, -v[54:55]
	v_lshl_add_u32 v16, v5, 4, 0
	ds_write_b128 v16, v[52:55]
	s_waitcnt vmcnt(0)
	v_add_f64 v[54:55], v[32:33], -v[44:45]
	v_add_u32_e32 v8, 0x150, v128
	v_fma_f64 v[52:53], v[32:33], 2.0, -v[54:55]
	v_lshl_add_u32 v20, v8, 4, 0
	ds_write_b128 v20, v[52:55]
	v_add_f64 v[54:55], v[56:57], -v[60:61]
	v_add_u32_e32 v4, 0x188, v128
	v_fma_f64 v[52:53], v[56:57], 2.0, -v[54:55]
	v_cmp_gt_u32_e32 vcc, 28, v128
	v_lshl_add_u32 v17, v4, 4, 0
	s_and_saveexec_b64 s[6:7], vcc
	s_cbranch_execz .LBB0_17
; %bb.16:
	ds_write_b128 v17, v[52:55]
.LBB0_17:
	s_or_b64 exec, exec, s[6:7]
	v_lshl_add_u32 v99, v128, 3, 0
	v_add_u32_e32 v0, 0x800, v99
	s_waitcnt lgkmcnt(0)
	; wave barrier
	s_waitcnt lgkmcnt(0)
	ds_read2_b64 v[80:83], v0 offset0:80 offset1:164
	v_add_u32_e32 v0, 0xc00, v99
	ds_read2_b64 v[84:87], v99 offset1:56
	ds_read2_b64 v[76:79], v0 offset0:92 offset1:148
	ds_read2_b64 v[88:91], v99 offset0:112 offset1:168
	v_add_u32_e32 v0, 0x1000, v99
	v_add_u32_e32 v1, 0x400, v99
	ds_read2_b64 v[72:75], v0 offset0:76 offset1:132
	ds_read2_b64 v[92:95], v1 offset0:96 offset1:152
	;; [unrolled: 1-line block ×3, first 2 shown]
	s_and_saveexec_b64 s[6:7], vcc
	s_cbranch_execz .LBB0_19
; %bb.18:
	ds_read_b64 v[52:53], v99 offset:3136
	ds_read_b64 v[54:55], v99 offset:6496
.LBB0_19:
	s_or_b64 exec, exec, s[6:7]
	v_add_f64 v[108:109], v[2:3], -v[66:67]
	v_fma_f64 v[106:107], v[2:3], 2.0, -v[108:109]
	v_add_f64 v[2:3], v[58:59], -v[62:63]
	v_add_f64 v[40:41], v[6:7], -v[38:39]
	;; [unrolled: 1-line block ×7, first 2 shown]
	v_fma_f64 v[0:1], v[58:59], 2.0, -v[2:3]
	v_fma_f64 v[38:39], v[6:7], 2.0, -v[40:41]
	;; [unrolled: 1-line block ×7, first 2 shown]
	s_waitcnt lgkmcnt(0)
	; wave barrier
	s_waitcnt lgkmcnt(0)
	ds_write_b128 v64, v[106:109]
	ds_write_b128 v36, v[38:41]
	;; [unrolled: 1-line block ×7, first 2 shown]
	s_and_saveexec_b64 s[6:7], vcc
	s_cbranch_execz .LBB0_21
; %bb.20:
	ds_write_b128 v17, v[0:3]
.LBB0_21:
	s_or_b64 exec, exec, s[6:7]
	v_add_u32_e32 v6, 0x800, v99
	s_waitcnt lgkmcnt(0)
	; wave barrier
	s_waitcnt lgkmcnt(0)
	ds_read2_b64 v[20:23], v6 offset0:80 offset1:164
	v_add_u32_e32 v6, 0xc00, v99
	ds_read2_b64 v[28:31], v99 offset1:56
	ds_read2_b64 v[60:63], v6 offset0:92 offset1:148
	ds_read2_b64 v[32:35], v99 offset0:112 offset1:168
	v_add_u32_e32 v6, 0x1000, v99
	v_add_u32_e32 v7, 0x400, v99
	ds_read2_b64 v[56:59], v6 offset0:76 offset1:132
	ds_read2_b64 v[36:39], v7 offset0:96 offset1:152
	;; [unrolled: 1-line block ×3, first 2 shown]
	v_lshlrev_b32_e32 v102, 1, v128
	v_lshlrev_b32_e32 v103, 1, v98
	;; [unrolled: 1-line block ×7, first 2 shown]
	s_and_saveexec_b64 s[6:7], vcc
	s_cbranch_execz .LBB0_23
; %bb.22:
	ds_read_b64 v[0:1], v99 offset:3136
	ds_read_b64 v[2:3], v99 offset:6496
.LBB0_23:
	s_or_b64 exec, exec, s[6:7]
	v_and_b32_e32 v111, 1, v128
	v_lshlrev_b32_e32 v5, 4, v111
	global_load_dwordx4 v[64:67], v5, s[4:5]
	s_movk_i32 s7, 0xfc
	s_movk_i32 s8, 0x1fc
	;; [unrolled: 1-line block ×4, first 2 shown]
	v_and_or_b32 v6, v103, s7, v111
	v_and_or_b32 v7, v106, s8, v111
	;; [unrolled: 1-line block ×6, first 2 shown]
	v_lshl_add_u32 v113, v6, 3, 0
	v_lshl_add_u32 v114, v7, 3, 0
	s_movk_i32 s6, 0x7c
	v_lshl_add_u32 v115, v8, 3, 0
	v_lshl_add_u32 v116, v9, 3, 0
	;; [unrolled: 1-line block ×4, first 2 shown]
	v_and_or_b32 v5, v102, s6, v111
	v_lshl_add_u32 v112, v5, 3, 0
	s_waitcnt lgkmcnt(0)
	; wave barrier
	s_waitcnt vmcnt(0) lgkmcnt(0)
	v_mul_f64 v[6:7], v[22:23], v[66:67]
	v_mul_f64 v[18:19], v[50:51], v[66:67]
	;; [unrolled: 1-line block ×8, first 2 shown]
	v_fmac_f64_e32 v[6:7], v[82:83], v[64:65]
	v_fmac_f64_e32 v[18:19], v[70:71], v[64:65]
	;; [unrolled: 1-line block ×8, first 2 shown]
	v_add_f64 v[6:7], v[84:85], -v[6:7]
	v_add_f64 v[18:19], v[80:81], -v[18:19]
	v_add_f64 v[8:9], v[86:87], -v[8:9]
	v_add_f64 v[10:11], v[88:89], -v[10:11]
	v_add_f64 v[12:13], v[90:91], -v[12:13]
	v_add_f64 v[14:15], v[92:93], -v[14:15]
	v_add_f64 v[16:17], v[94:95], -v[16:17]
	v_add_f64 v[96:97], v[52:53], -v[24:25]
	v_fma_f64 v[24:25], v[84:85], 2.0, -v[6:7]
	v_fma_f64 v[84:85], v[80:81], 2.0, -v[18:19]
	;; [unrolled: 1-line block ×8, first 2 shown]
	ds_write2_b64 v112, v[24:25], v[6:7] offset1:2
	ds_write2_b64 v113, v[26:27], v[8:9] offset1:2
	;; [unrolled: 1-line block ×7, first 2 shown]
	v_lshlrev_b32_e32 v84, 1, v4
	s_and_saveexec_b64 s[6:7], vcc
	s_cbranch_execz .LBB0_25
; %bb.24:
	s_movk_i32 s8, 0x37c
	v_and_or_b32 v4, v84, s8, v111
	v_lshl_add_u32 v4, v4, 3, 0
	ds_write2_b64 v4, v[80:81], v[96:97] offset1:2
.LBB0_25:
	s_or_b64 exec, exec, s[6:7]
	v_add_u32_e32 v4, 0x800, v99
	s_waitcnt lgkmcnt(0)
	; wave barrier
	s_waitcnt lgkmcnt(0)
	ds_read2_b64 v[16:19], v4 offset0:80 offset1:164
	v_add_u32_e32 v4, 0xc00, v99
	ds_read2_b64 v[24:27], v99 offset1:56
	ds_read2_b64 v[12:15], v4 offset0:92 offset1:148
	ds_read2_b64 v[40:43], v99 offset0:112 offset1:168
	v_add_u32_e32 v4, 0x1000, v99
	v_add_u32_e32 v5, 0x400, v99
	ds_read2_b64 v[8:11], v4 offset0:76 offset1:132
	ds_read2_b64 v[44:47], v5 offset0:96 offset1:152
	ds_read2_b64 v[4:7], v4 offset0:188 offset1:244
	s_and_saveexec_b64 s[6:7], vcc
	s_cbranch_execz .LBB0_27
; %bb.26:
	ds_read_b64 v[80:81], v99 offset:3136
	ds_read_b64 v[96:97], v99 offset:6496
.LBB0_27:
	s_or_b64 exec, exec, s[6:7]
	v_mul_f64 v[52:53], v[82:83], v[66:67]
	v_fma_f64 v[22:23], v[22:23], v[64:65], -v[52:53]
	v_mul_f64 v[52:53], v[76:77], v[66:67]
	v_fma_f64 v[52:53], v[60:61], v[64:65], -v[52:53]
	;; [unrolled: 2-line block ×5, first 2 shown]
	v_mul_f64 v[62:63], v[68:69], v[66:67]
	v_mul_f64 v[54:55], v[54:55], v[66:67]
	v_fma_f64 v[48:49], v[48:49], v[64:65], -v[62:63]
	v_mul_f64 v[62:63], v[70:71], v[66:67]
	v_fma_f64 v[2:3], v[2:3], v[64:65], -v[54:55]
	v_fma_f64 v[50:51], v[50:51], v[64:65], -v[62:63]
	v_add_f64 v[22:23], v[28:29], -v[22:23]
	v_add_f64 v[64:65], v[0:1], -v[2:3]
	v_fma_f64 v[28:29], v[28:29], 2.0, -v[22:23]
	v_add_f64 v[52:53], v[30:31], -v[52:53]
	v_add_f64 v[54:55], v[32:33], -v[60:61]
	;; [unrolled: 1-line block ×6, first 2 shown]
	v_fma_f64 v[0:1], v[0:1], 2.0, -v[64:65]
	v_fma_f64 v[30:31], v[30:31], 2.0, -v[52:53]
	v_fma_f64 v[32:33], v[32:33], 2.0, -v[54:55]
	v_fma_f64 v[34:35], v[34:35], 2.0, -v[56:57]
	v_fma_f64 v[36:37], v[36:37], 2.0, -v[58:59]
	v_fma_f64 v[38:39], v[38:39], 2.0, -v[48:49]
	v_fma_f64 v[20:21], v[20:21], 2.0, -v[50:51]
	s_waitcnt lgkmcnt(0)
	; wave barrier
	s_waitcnt lgkmcnt(0)
	ds_write2_b64 v112, v[28:29], v[22:23] offset1:2
	ds_write2_b64 v113, v[30:31], v[52:53] offset1:2
	;; [unrolled: 1-line block ×7, first 2 shown]
	s_and_saveexec_b64 s[6:7], vcc
	s_cbranch_execz .LBB0_29
; %bb.28:
	s_movk_i32 s8, 0x37c
	v_and_or_b32 v2, v84, s8, v111
	v_lshl_add_u32 v2, v2, 3, 0
	ds_write2_b64 v2, v[0:1], v[64:65] offset1:2
.LBB0_29:
	s_or_b64 exec, exec, s[6:7]
	v_add_u32_e32 v2, 0x800, v99
	s_waitcnt lgkmcnt(0)
	; wave barrier
	s_waitcnt lgkmcnt(0)
	ds_read2_b64 v[20:23], v2 offset0:80 offset1:164
	v_add_u32_e32 v2, 0xc00, v99
	ds_read2_b64 v[28:31], v99 offset1:56
	ds_read2_b64 v[56:59], v2 offset0:92 offset1:148
	ds_read2_b64 v[32:35], v99 offset0:112 offset1:168
	v_add_u32_e32 v2, 0x1000, v99
	v_add_u32_e32 v3, 0x400, v99
	ds_read2_b64 v[52:55], v2 offset0:76 offset1:132
	ds_read2_b64 v[36:39], v3 offset0:96 offset1:152
	;; [unrolled: 1-line block ×3, first 2 shown]
	s_and_saveexec_b64 s[6:7], vcc
	s_cbranch_execz .LBB0_31
; %bb.30:
	ds_read_b64 v[0:1], v99 offset:3136
	ds_read_b64 v[64:65], v99 offset:6496
.LBB0_31:
	s_or_b64 exec, exec, s[6:7]
	v_and_b32_e32 v66, 3, v128
	v_lshlrev_b32_e32 v2, 4, v66
	global_load_dwordx4 v[60:63], v2, s[4:5] offset:32
	s_movk_i32 s6, 0x78
	s_movk_i32 s7, 0xf8
	v_and_or_b32 v2, v102, s6, v66
	v_and_or_b32 v3, v103, s7, v66
	v_lshl_add_u32 v67, v2, 3, 0
	v_lshl_add_u32 v68, v3, 3, 0
	s_movk_i32 s8, 0x1f8
	s_movk_i32 s9, 0x3f8
	s_movk_i32 s12, 0x2f8
	v_and_or_b32 v69, v106, s8, v66
	v_and_or_b32 v70, v108, s8, v66
	;; [unrolled: 1-line block ×5, first 2 shown]
	v_lshl_add_u32 v69, v69, 3, 0
	v_lshl_add_u32 v70, v70, 3, 0
	;; [unrolled: 1-line block ×5, first 2 shown]
	s_waitcnt lgkmcnt(0)
	; wave barrier
	s_waitcnt vmcnt(0) lgkmcnt(0)
	v_mul_f64 v[2:3], v[22:23], v[62:63]
	v_mul_f64 v[74:75], v[56:57], v[62:63]
	;; [unrolled: 1-line block ×8, first 2 shown]
	v_fmac_f64_e32 v[2:3], v[18:19], v[60:61]
	v_fmac_f64_e32 v[74:75], v[12:13], v[60:61]
	;; [unrolled: 1-line block ×8, first 2 shown]
	v_add_f64 v[92:93], v[24:25], -v[2:3]
	v_add_f64 v[74:75], v[26:27], -v[74:75]
	;; [unrolled: 1-line block ×8, first 2 shown]
	v_fma_f64 v[24:25], v[24:25], 2.0, -v[92:93]
	v_fma_f64 v[26:27], v[26:27], 2.0, -v[74:75]
	;; [unrolled: 1-line block ×7, first 2 shown]
	ds_write2_b64 v67, v[24:25], v[92:93] offset1:4
	ds_write2_b64 v68, v[26:27], v[74:75] offset1:4
	ds_write2_b64 v69, v[40:41], v[76:77] offset1:4
	ds_write2_b64 v70, v[42:43], v[78:79] offset1:4
	ds_write2_b64 v71, v[44:45], v[82:83] offset1:4
	ds_write2_b64 v72, v[46:47], v[86:87] offset1:4
	ds_write2_b64 v73, v[16:17], v[88:89] offset1:4
	s_and_saveexec_b64 s[6:7], vcc
	s_cbranch_execz .LBB0_33
; %bb.32:
	s_movk_i32 s8, 0x378
	v_and_or_b32 v16, v84, s8, v66
	v_lshl_add_u32 v24, v16, 3, 0
	v_fma_f64 v[16:17], v[80:81], 2.0, -v[2:3]
	ds_write2_b64 v24, v[16:17], v[2:3] offset1:4
.LBB0_33:
	s_or_b64 exec, exec, s[6:7]
	v_mul_f64 v[16:17], v[18:19], v[62:63]
	v_mul_f64 v[12:13], v[12:13], v[62:63]
	v_fma_f64 v[16:17], v[22:23], v[60:61], -v[16:17]
	v_fma_f64 v[12:13], v[56:57], v[60:61], -v[12:13]
	v_mul_f64 v[14:15], v[14:15], v[62:63]
	v_mul_f64 v[8:9], v[8:9], v[62:63]
	;; [unrolled: 1-line block ×4, first 2 shown]
	v_fma_f64 v[14:15], v[58:59], v[60:61], -v[14:15]
	v_fma_f64 v[8:9], v[52:53], v[60:61], -v[8:9]
	;; [unrolled: 1-line block ×4, first 2 shown]
	v_mul_f64 v[6:7], v[6:7], v[62:63]
	v_mul_f64 v[18:19], v[96:97], v[62:63]
	v_add_f64 v[22:23], v[28:29], -v[16:17]
	v_add_f64 v[26:27], v[30:31], -v[12:13]
	v_fma_f64 v[6:7], v[50:51], v[60:61], -v[6:7]
	v_fma_f64 v[18:19], v[64:65], v[60:61], -v[18:19]
	v_fma_f64 v[24:25], v[28:29], 2.0, -v[22:23]
	v_fma_f64 v[28:29], v[30:31], 2.0, -v[26:27]
	v_add_f64 v[30:31], v[32:33], -v[14:15]
	v_add_f64 v[54:55], v[34:35], -v[8:9]
	;; [unrolled: 1-line block ×4, first 2 shown]
	v_add_u32_e32 v49, 0x400, v99
	v_add_u32_e32 v48, 0x1000, v99
	;; [unrolled: 1-line block ×3, first 2 shown]
	v_fma_f64 v[52:53], v[32:33], 2.0, -v[30:31]
	v_fma_f64 v[56:57], v[34:35], 2.0, -v[54:55]
	;; [unrolled: 1-line block ×4, first 2 shown]
	v_add_f64 v[74:75], v[20:21], -v[6:7]
	v_add_f64 v[6:7], v[0:1], -v[18:19]
	s_waitcnt lgkmcnt(0)
	; wave barrier
	s_waitcnt lgkmcnt(0)
	ds_read2_b64 v[16:19], v99 offset1:56
	ds_read2_b64 v[8:11], v49 offset0:96 offset1:152
	ds_read2_b64 v[44:47], v48 offset0:48 offset1:104
	;; [unrolled: 1-line block ×6, first 2 shown]
	ds_read_b64 v[4:5], v99 offset:6272
	v_fma_f64 v[20:21], v[20:21], 2.0, -v[74:75]
	s_waitcnt lgkmcnt(0)
	; wave barrier
	s_waitcnt lgkmcnt(0)
	ds_write2_b64 v67, v[24:25], v[22:23] offset1:4
	ds_write2_b64 v68, v[28:29], v[26:27] offset1:4
	;; [unrolled: 1-line block ×7, first 2 shown]
	s_and_saveexec_b64 s[6:7], vcc
	s_cbranch_execz .LBB0_35
; %bb.34:
	s_movk_i32 s8, 0x378
	v_and_or_b32 v20, v84, s8, v66
	v_fma_f64 v[0:1], v[0:1], 2.0, -v[6:7]
	v_lshl_add_u32 v20, v20, 3, 0
	ds_write2_b64 v20, v[0:1], v[6:7] offset1:4
.LBB0_35:
	s_or_b64 exec, exec, s[6:7]
	v_and_b32_e32 v51, 7, v128
	v_lshlrev_b32_e32 v0, 5, v51
	s_waitcnt lgkmcnt(0)
	; wave barrier
	s_waitcnt lgkmcnt(0)
	global_load_dwordx4 v[52:55], v0, s[4:5] offset:96
	global_load_dwordx4 v[56:59], v0, s[4:5] offset:112
	ds_read2_b64 v[24:27], v99 offset1:56
	ds_read2_b64 v[20:23], v49 offset0:96 offset1:152
	ds_read2_b64 v[60:63], v48 offset0:48 offset1:104
	;; [unrolled: 1-line block ×6, first 2 shown]
	ds_read_b64 v[0:1], v99 offset:6272
	s_mov_b32 s6, 0xe8584caa
	s_mov_b32 s7, 0xbfebb67a
	;; [unrolled: 1-line block ×4, first 2 shown]
	s_waitcnt lgkmcnt(0)
	; wave barrier
	s_waitcnt lgkmcnt(0)
	s_mov_b32 s15, 0x3fee6f0e
	s_mov_b32 s12, 0x372fe950
	;; [unrolled: 1-line block ×4, first 2 shown]
	v_cmp_gt_u32_e32 vcc, 8, v128
	s_waitcnt vmcnt(1)
	v_mul_f64 v[76:77], v[22:23], v[54:55]
	v_mul_f64 v[78:79], v[10:11], v[54:55]
	s_waitcnt vmcnt(0)
	v_mul_f64 v[82:83], v[44:45], v[58:59]
	v_mul_f64 v[84:85], v[64:65], v[54:55]
	;; [unrolled: 1-line block ×18, first 2 shown]
	v_fmac_f64_e32 v[76:77], v[10:11], v[52:53]
	v_fma_f64 v[10:11], v[22:23], v[52:53], -v[78:79]
	v_fma_f64 v[22:23], v[60:61], v[56:57], -v[82:83]
	v_fmac_f64_e32 v[84:85], v[40:41], v[52:53]
	v_fma_f64 v[40:41], v[64:65], v[52:53], -v[86:87]
	v_fmac_f64_e32 v[88:89], v[46:47], v[56:57]
	v_fmac_f64_e32 v[92:93], v[42:43], v[52:53]
	v_fma_f64 v[42:43], v[66:67], v[52:53], -v[94:95]
	v_fmac_f64_e32 v[96:97], v[36:37], v[56:57]
	;; [unrolled: 3-line block ×3, first 2 shown]
	v_fma_f64 v[34:35], v[74:75], v[52:53], -v[54:55]
	v_fma_f64 v[0:1], v[0:1], v[56:57], -v[58:59]
	v_add_f64 v[52:53], v[10:11], -v[22:23]
	v_add_f64 v[54:55], v[24:25], v[10:11]
	v_add_f64 v[10:11], v[10:11], v[22:23]
	;; [unrolled: 1-line block ×3, first 2 shown]
	v_fma_f64 v[36:37], v[68:69], v[56:57], -v[102:103]
	v_fma_f64 v[24:25], -0.5, v[10:11], v[24:25]
	v_add_f64 v[10:11], v[58:59], v[88:89]
	v_add_f64 v[58:59], v[92:93], v[96:97]
	v_fmac_f64_e32 v[80:81], v[44:45], v[56:57]
	v_fma_f64 v[44:45], v[62:63], v[56:57], -v[90:91]
	v_add_f64 v[60:61], v[84:85], v[88:89]
	v_add_f64 v[68:69], v[12:13], v[92:93]
	v_fma_f64 v[12:13], -0.5, v[58:59], v[12:13]
	v_add_f64 v[58:59], v[42:43], -v[36:37]
	v_add_f64 v[62:63], v[40:41], -v[44:45]
	v_add_f64 v[64:65], v[26:27], v[40:41]
	v_fmac_f64_e32 v[18:19], -0.5, v[60:61]
	v_fma_f64 v[60:61], s[6:7], v[58:59], v[12:13]
	v_fmac_f64_e32 v[12:13], s[8:9], v[58:59]
	v_add_f64 v[58:59], v[28:29], v[42:43]
	v_fmac_f64_e32 v[110:111], v[38:39], v[56:57]
	v_add_f64 v[40:41], v[40:41], v[44:45]
	v_add_f64 v[22:23], v[54:55], v[22:23]
	;; [unrolled: 1-line block ×3, first 2 shown]
	v_fma_f64 v[44:45], s[6:7], v[62:63], v[18:19]
	v_fmac_f64_e32 v[18:19], s[8:9], v[62:63]
	v_add_f64 v[62:63], v[58:59], v[36:37]
	v_add_f64 v[36:37], v[42:43], v[36:37]
	v_fma_f64 v[38:39], v[70:71], v[56:57], -v[112:113]
	v_fma_f64 v[28:29], -0.5, v[36:37], v[28:29]
	v_add_f64 v[36:37], v[92:93], -v[96:97]
	v_add_f64 v[42:43], v[106:107], v[110:111]
	v_add_f64 v[46:47], v[76:77], v[80:81]
	v_fma_f64 v[64:65], s[8:9], v[36:37], v[28:29]
	v_fmac_f64_e32 v[28:29], s[6:7], v[36:37]
	v_add_f64 v[36:37], v[14:15], v[106:107]
	v_fmac_f64_e32 v[14:15], -0.5, v[42:43]
	v_add_f64 v[42:43], v[32:33], -v[38:39]
	v_fmac_f64_e32 v[116:117], v[4:5], v[56:57]
	v_add_f64 v[4:5], v[16:17], v[76:77]
	v_add_f64 v[56:57], v[76:77], -v[80:81]
	v_add_f64 v[66:67], v[84:85], -v[88:89]
	v_fma_f64 v[16:17], -0.5, v[46:47], v[16:17]
	v_fmac_f64_e32 v[26:27], -0.5, v[40:41]
	v_fma_f64 v[58:59], s[6:7], v[42:43], v[14:15]
	v_fmac_f64_e32 v[14:15], s[8:9], v[42:43]
	v_add_f64 v[42:43], v[30:31], v[32:33]
	v_add_f64 v[32:33], v[32:33], v[38:39]
	v_fma_f64 v[40:41], s[6:7], v[52:53], v[16:17]
	v_fmac_f64_e32 v[16:17], s[8:9], v[52:53]
	v_fma_f64 v[52:53], s[8:9], v[56:57], v[24:25]
	v_fmac_f64_e32 v[24:25], s[6:7], v[56:57]
	;; [unrolled: 2-line block ×3, first 2 shown]
	v_add_f64 v[66:67], v[42:43], v[38:39]
	v_fmac_f64_e32 v[30:31], -0.5, v[32:33]
	v_add_f64 v[32:33], v[106:107], -v[110:111]
	v_add_f64 v[38:39], v[114:115], v[116:117]
	v_add_f64 v[46:47], v[68:69], v[96:97]
	v_fma_f64 v[68:69], s[8:9], v[32:33], v[30:31]
	v_fmac_f64_e32 v[30:31], s[6:7], v[32:33]
	v_add_f64 v[32:33], v[8:9], v[114:115]
	v_fmac_f64_e32 v[8:9], -0.5, v[38:39]
	v_add_f64 v[38:39], v[34:35], -v[0:1]
	v_fma_f64 v[42:43], s[6:7], v[38:39], v[8:9]
	v_fmac_f64_e32 v[8:9], s[8:9], v[38:39]
	v_add_f64 v[38:39], v[20:21], v[34:35]
	v_add_f64 v[70:71], v[38:39], v[0:1]
	;; [unrolled: 1-line block ×3, first 2 shown]
	v_fmac_f64_e32 v[20:21], -0.5, v[0:1]
	v_add_f64 v[0:1], v[114:115], -v[116:117]
	v_fma_f64 v[72:73], s[8:9], v[0:1], v[20:21]
	v_fmac_f64_e32 v[20:21], s[6:7], v[0:1]
	v_lshrrev_b32_e32 v0, 3, v128
	v_mul_u32_u24_e32 v0, 24, v0
	v_or_b32_e32 v0, v0, v51
	v_lshl_add_u32 v74, v0, 3, 0
	v_lshrrev_b32_e32 v0, 3, v98
	v_mul_u32_u24_e32 v0, 24, v0
	v_add_f64 v[4:5], v[4:5], v[80:81]
	v_or_b32_e32 v0, v0, v51
	ds_write2_b64 v74, v[4:5], v[40:41] offset1:8
	ds_write_b64 v74, v[16:17] offset:128
	v_lshl_add_u32 v4, v0, 3, 0
	v_lshrrev_b32_e32 v0, 3, v129
	v_mul_u32_u24_e32 v0, 24, v0
	v_or_b32_e32 v0, v0, v51
	v_lshl_add_u32 v5, v0, 3, 0
	v_lshrrev_b32_e32 v0, 3, v100
	v_mul_u32_u24_e32 v0, 24, v0
	v_or_b32_e32 v0, v0, v51
	;; [unrolled: 4-line block ×3, first 2 shown]
	v_add_f64 v[36:37], v[36:37], v[110:111]
	v_add_f64 v[32:33], v[32:33], v[116:117]
	v_lshl_add_u32 v17, v0, 3, 0
	s_movk_i32 s6, 0xab
	ds_write2_b64 v4, v[10:11], v[44:45] offset1:8
	ds_write_b64 v4, v[18:19] offset:128
	ds_write2_b64 v5, v[46:47], v[60:61] offset1:8
	ds_write_b64 v5, v[12:13] offset:128
	;; [unrolled: 2-line block ×4, first 2 shown]
	s_waitcnt lgkmcnt(0)
	; wave barrier
	s_waitcnt lgkmcnt(0)
	ds_read2_b64 v[12:15], v99 offset1:56
	ds_read2_b64 v[8:11], v99 offset0:112 offset1:168
	ds_read2_b64 v[36:39], v50 offset0:80 offset1:136
	;; [unrolled: 1-line block ×6, first 2 shown]
	ds_read_b64 v[0:1], v99 offset:6272
	s_waitcnt lgkmcnt(0)
	; wave barrier
	s_waitcnt lgkmcnt(0)
	ds_write2_b64 v74, v[22:23], v[52:53] offset1:8
	ds_write_b64 v74, v[24:25] offset:128
	ds_write2_b64 v4, v[54:55], v[56:57] offset1:8
	ds_write_b64 v4, v[26:27] offset:128
	ds_write2_b64 v5, v[62:63], v[64:65] offset1:8
	ds_write_b64 v5, v[28:29] offset:128
	ds_write2_b64 v16, v[66:67], v[68:69] offset1:8
	ds_write_b64 v16, v[30:31] offset:128
	ds_write2_b64 v17, v[70:71], v[72:73] offset1:8
	ds_write_b64 v17, v[20:21] offset:128
	v_mul_lo_u16_sdwa v4, v128, s6 dst_sel:DWORD dst_unused:UNUSED_PAD src0_sel:BYTE_0 src1_sel:DWORD
	v_lshrrev_b16_e32 v51, 12, v4
	v_mul_lo_u16_e32 v4, 24, v51
	v_mul_lo_u16_sdwa v16, v98, s6 dst_sel:DWORD dst_unused:UNUSED_PAD src0_sel:BYTE_0 src1_sel:DWORD
	v_sub_u16_e32 v118, v128, v4
	v_mov_b32_e32 v4, 6
	v_lshrrev_b16_e32 v119, 12, v16
	v_lshlrev_b32_sdwa v5, v4, v118 dst_sel:DWORD dst_unused:UNUSED_PAD src0_sel:DWORD src1_sel:BYTE_0
	v_mul_lo_u16_e32 v16, 24, v119
	s_waitcnt lgkmcnt(0)
	; wave barrier
	s_waitcnt lgkmcnt(0)
	global_load_dwordx4 v[24:27], v5, s[4:5] offset:368
	v_sub_u16_e32 v126, v98, v16
	v_lshlrev_b32_sdwa v16, v4, v126 dst_sel:DWORD dst_unused:UNUSED_PAD src0_sel:DWORD src1_sel:BYTE_0
	global_load_dwordx4 v[28:31], v16, s[4:5] offset:368
	global_load_dwordx4 v[54:57], v5, s[4:5] offset:352
	;; [unrolled: 1-line block ×7, first 2 shown]
	v_mul_lo_u16_sdwa v5, v129, s6 dst_sel:DWORD dst_unused:UNUSED_PAD src0_sel:BYTE_0 src1_sel:DWORD
	v_lshrrev_b16_e32 v127, 12, v5
	v_mul_lo_u16_e32 v5, 24, v127
	v_sub_u16_e32 v142, v129, v5
	v_lshlrev_b32_sdwa v4, v4, v142 dst_sel:DWORD dst_unused:UNUSED_PAD src0_sel:DWORD src1_sel:BYTE_0
	global_load_dwordx4 v[106:109], v4, s[4:5] offset:352
	global_load_dwordx4 v[110:113], v4, s[4:5] offset:368
	;; [unrolled: 1-line block ×4, first 2 shown]
	ds_read2_b64 v[20:23], v99 offset1:56
	ds_read2_b64 v[70:73], v50 offset0:80 offset1:136
	ds_read2_b64 v[16:19], v99 offset0:112 offset1:168
	;; [unrolled: 1-line block ×5, first 2 shown]
	s_mov_b32 s8, 0x134454ff
	s_mov_b32 s9, 0xbfee6f0e
	;; [unrolled: 1-line block ×6, first 2 shown]
	s_waitcnt vmcnt(10) lgkmcnt(4)
	v_mul_f64 v[52:53], v[72:73], v[30:31]
	v_fmac_f64_e32 v[52:53], v[38:39], v[28:29]
	s_waitcnt vmcnt(9) lgkmcnt(3)
	v_mul_f64 v[90:91], v[18:19], v[56:57]
	v_mul_f64 v[4:5], v[36:37], v[26:27]
	;; [unrolled: 1-line block ×3, first 2 shown]
	v_fma_f64 v[70:71], v[70:71], v[24:25], -v[4:5]
	v_mul_f64 v[4:5], v[38:39], v[30:31]
	v_fmac_f64_e32 v[86:87], v[36:37], v[24:25]
	ds_read2_b64 v[24:27], v48 offset0:48 offset1:104
	v_fma_f64 v[4:5], v[72:73], v[28:29], -v[4:5]
	ds_read_b64 v[28:29], v99 offset:6272
	v_fmac_f64_e32 v[90:91], v[10:11], v[54:55]
	v_mul_f64 v[10:11], v[10:11], v[56:57]
	v_fma_f64 v[78:79], v[18:19], v[54:55], -v[10:11]
	s_waitcnt vmcnt(8)
	v_mul_f64 v[10:11], v[42:43], v[64:65]
	s_waitcnt lgkmcnt(4)
	v_fma_f64 v[84:85], v[132:133], v[62:63], -v[10:11]
	s_waitcnt vmcnt(7)
	v_mul_f64 v[10:11], v[44:45], v[68:69]
	s_waitcnt lgkmcnt(3)
	;; [unrolled: 4-line block ×3, first 2 shown]
	v_mul_f64 v[72:73], v[138:139], v[76:77]
	v_fma_f64 v[56:57], v[138:139], v[74:75], -v[10:11]
	s_waitcnt vmcnt(5) lgkmcnt(1)
	v_mul_f64 v[76:77], v[24:25], v[82:83]
	v_mul_f64 v[10:11], v[32:33], v[82:83]
	s_waitcnt vmcnt(0) lgkmcnt(0)
	v_mul_f64 v[82:83], v[28:29], v[124:125]
	v_mul_f64 v[92:93], v[132:133], v[64:65]
	v_fmac_f64_e32 v[72:73], v[58:59], v[74:75]
	v_fma_f64 v[58:59], v[24:25], v[80:81], -v[10:11]
	v_mul_f64 v[10:11], v[46:47], v[102:103]
	v_fmac_f64_e32 v[82:83], v[0:1], v[122:123]
	v_mul_f64 v[0:1], v[0:1], v[124:125]
	v_fmac_f64_e32 v[92:93], v[42:43], v[62:63]
	v_fma_f64 v[62:63], v[136:137], v[100:101], -v[10:11]
	v_mul_f64 v[10:11], v[60:61], v[108:109]
	v_fma_f64 v[64:65], v[28:29], v[122:123], -v[0:1]
	v_add_f64 v[0:1], v[12:13], v[90:91]
	v_mul_f64 v[94:95], v[134:135], v[68:69]
	v_fma_f64 v[18:19], v[140:141], v[106:107], -v[10:11]
	v_mul_f64 v[10:11], v[40:41], v[112:113]
	v_add_f64 v[0:1], v[0:1], v[86:87]
	v_fmac_f64_e32 v[94:95], v[44:45], v[66:67]
	v_mul_f64 v[66:67], v[140:141], v[108:109]
	v_fma_f64 v[54:55], v[130:131], v[110:111], -v[10:11]
	v_mul_f64 v[10:11], v[34:35], v[116:117]
	v_add_f64 v[0:1], v[0:1], v[92:93]
	v_fmac_f64_e32 v[66:67], v[60:61], v[106:107]
	v_fma_f64 v[60:61], v[26:27], v[114:115], -v[10:11]
	v_add_f64 v[10:11], v[0:1], v[94:95]
	v_add_f64 v[0:1], v[86:87], v[92:93]
	v_fma_f64 v[24:25], -0.5, v[0:1], v[12:13]
	v_add_f64 v[0:1], v[78:79], -v[88:89]
	v_fmac_f64_e32 v[76:77], v[32:33], v[80:81]
	v_mul_f64 v[74:75], v[26:27], v[116:117]
	v_fma_f64 v[26:27], s[8:9], v[0:1], v[24:25]
	v_add_f64 v[28:29], v[70:71], -v[84:85]
	v_add_f64 v[30:31], v[90:91], -v[86:87]
	;; [unrolled: 1-line block ×3, first 2 shown]
	v_fmac_f64_e32 v[24:25], s[14:15], v[0:1]
	v_fmac_f64_e32 v[26:27], s[6:7], v[28:29]
	v_add_f64 v[30:31], v[30:31], v[32:33]
	v_fmac_f64_e32 v[24:25], s[16:17], v[28:29]
	v_fmac_f64_e32 v[26:27], s[12:13], v[30:31]
	;; [unrolled: 1-line block ×3, first 2 shown]
	v_add_f64 v[30:31], v[90:91], v[94:95]
	v_fma_f64 v[12:13], -0.5, v[30:31], v[12:13]
	v_fma_f64 v[30:31], s[14:15], v[28:29], v[12:13]
	v_fmac_f64_e32 v[12:13], s[8:9], v[28:29]
	v_fmac_f64_e32 v[30:31], s[6:7], v[0:1]
	;; [unrolled: 1-line block ×3, first 2 shown]
	v_add_f64 v[0:1], v[14:15], v[72:73]
	v_mul_f64 v[80:81], v[136:137], v[102:103]
	v_add_f64 v[0:1], v[0:1], v[52:53]
	v_fmac_f64_e32 v[80:81], v[46:47], v[100:101]
	v_fmac_f64_e32 v[74:75], v[34:35], v[114:115]
	v_add_f64 v[32:33], v[86:87], -v[90:91]
	v_add_f64 v[34:35], v[92:93], -v[94:95]
	v_add_f64 v[0:1], v[0:1], v[76:77]
	v_add_f64 v[32:33], v[32:33], v[34:35]
	;; [unrolled: 1-line block ×4, first 2 shown]
	v_mul_f64 v[68:69], v[130:131], v[112:113]
	v_fmac_f64_e32 v[30:31], s[12:13], v[32:33]
	v_fmac_f64_e32 v[12:13], s[12:13], v[32:33]
	v_fma_f64 v[32:33], -0.5, v[0:1], v[14:15]
	v_add_f64 v[0:1], v[56:57], -v[62:63]
	v_fmac_f64_e32 v[68:69], v[40:41], v[110:111]
	v_fma_f64 v[34:35], s[8:9], v[0:1], v[32:33]
	v_add_f64 v[36:37], v[4:5], -v[58:59]
	v_add_f64 v[38:39], v[72:73], -v[52:53]
	;; [unrolled: 1-line block ×3, first 2 shown]
	v_fmac_f64_e32 v[32:33], s[14:15], v[0:1]
	v_fmac_f64_e32 v[34:35], s[6:7], v[36:37]
	v_add_f64 v[38:39], v[38:39], v[40:41]
	v_fmac_f64_e32 v[32:33], s[16:17], v[36:37]
	v_fmac_f64_e32 v[34:35], s[12:13], v[38:39]
	;; [unrolled: 1-line block ×3, first 2 shown]
	v_add_f64 v[38:39], v[72:73], v[80:81]
	v_fmac_f64_e32 v[14:15], -0.5, v[38:39]
	v_fma_f64 v[38:39], s[14:15], v[36:37], v[14:15]
	v_fmac_f64_e32 v[14:15], s[8:9], v[36:37]
	v_fmac_f64_e32 v[38:39], s[6:7], v[0:1]
	;; [unrolled: 1-line block ×3, first 2 shown]
	v_add_f64 v[0:1], v[8:9], v[66:67]
	v_add_f64 v[0:1], v[0:1], v[68:69]
	v_add_f64 v[40:41], v[52:53], -v[72:73]
	v_add_f64 v[42:43], v[76:77], -v[80:81]
	v_add_f64 v[0:1], v[0:1], v[74:75]
	v_add_f64 v[40:41], v[40:41], v[42:43]
	v_add_f64 v[36:37], v[0:1], v[82:83]
	v_add_f64 v[0:1], v[68:69], v[74:75]
	v_fmac_f64_e32 v[38:39], s[12:13], v[40:41]
	v_fmac_f64_e32 v[14:15], s[12:13], v[40:41]
	v_fma_f64 v[0:1], -0.5, v[0:1], v[8:9]
	v_add_f64 v[40:41], v[18:19], -v[64:65]
	v_fma_f64 v[42:43], s[8:9], v[40:41], v[0:1]
	v_add_f64 v[44:45], v[54:55], -v[60:61]
	v_add_f64 v[46:47], v[66:67], -v[68:69]
	;; [unrolled: 1-line block ×3, first 2 shown]
	v_fmac_f64_e32 v[0:1], s[14:15], v[40:41]
	v_fmac_f64_e32 v[42:43], s[6:7], v[44:45]
	v_add_f64 v[46:47], v[46:47], v[96:97]
	v_fmac_f64_e32 v[0:1], s[16:17], v[44:45]
	v_fmac_f64_e32 v[42:43], s[12:13], v[46:47]
	;; [unrolled: 1-line block ×3, first 2 shown]
	v_add_f64 v[46:47], v[66:67], v[82:83]
	v_fmac_f64_e32 v[8:9], -0.5, v[46:47]
	v_fma_f64 v[46:47], s[14:15], v[44:45], v[8:9]
	v_fmac_f64_e32 v[8:9], s[8:9], v[44:45]
	v_fmac_f64_e32 v[46:47], s[6:7], v[40:41]
	v_add_f64 v[96:97], v[68:69], -v[66:67]
	v_add_f64 v[100:101], v[74:75], -v[82:83]
	v_fmac_f64_e32 v[8:9], s[16:17], v[40:41]
	v_mov_b32_e32 v41, 3
	v_add_f64 v[96:97], v[96:97], v[100:101]
	v_mul_u32_u24_e32 v40, 0x3c0, v51
	v_lshlrev_b32_sdwa v44, v41, v118 dst_sel:DWORD dst_unused:UNUSED_PAD src0_sel:DWORD src1_sel:BYTE_0
	v_fmac_f64_e32 v[46:47], s[12:13], v[96:97]
	v_fmac_f64_e32 v[8:9], s[12:13], v[96:97]
	v_add3_u32 v96, 0, v40, v44
	s_waitcnt lgkmcnt(0)
	; wave barrier
	ds_write2_b64 v96, v[10:11], v[26:27] offset1:24
	ds_write2_b64 v96, v[30:31], v[12:13] offset0:48 offset1:72
	ds_write_b64 v96, v[24:25] offset:768
	v_mul_u32_u24_e32 v10, 0x3c0, v119
	v_lshlrev_b32_sdwa v11, v41, v126 dst_sel:DWORD dst_unused:UNUSED_PAD src0_sel:DWORD src1_sel:BYTE_0
	v_add3_u32 v97, 0, v10, v11
	v_mul_u32_u24_e32 v10, 0x3c0, v127
	v_lshlrev_b32_sdwa v11, v41, v142 dst_sel:DWORD dst_unused:UNUSED_PAD src0_sel:DWORD src1_sel:BYTE_0
	v_add3_u32 v100, 0, v10, v11
	ds_write2_b64 v97, v[28:29], v[34:35] offset1:24
	ds_write2_b64 v97, v[38:39], v[14:15] offset0:48 offset1:72
	ds_write_b64 v97, v[32:33] offset:768
	ds_write2_b64 v100, v[36:37], v[42:43] offset1:24
	ds_write2_b64 v100, v[46:47], v[8:9] offset0:48 offset1:72
	ds_write_b64 v100, v[0:1] offset:768
	s_waitcnt lgkmcnt(0)
	; wave barrier
	s_waitcnt lgkmcnt(0)
	ds_read2_b64 v[24:27], v99 offset1:56
	ds_read2_b64 v[44:47], v99 offset0:120 offset1:176
	ds_read2_b64 v[36:39], v49 offset0:112 offset1:168
	;; [unrolled: 1-line block ×3, first 2 shown]
	v_add_u32_e32 v101, 0xc00, v99
	v_add_u32_e32 v102, 0x1400, v99
	ds_read2_b64 v[32:35], v101 offset0:96 offset1:152
	ds_read2_b64 v[40:43], v48 offset0:88 offset1:144
	;; [unrolled: 1-line block ×3, first 2 shown]
                                        ; implicit-def: $vgpr122_vgpr123
                                        ; implicit-def: $vgpr10_vgpr11
                                        ; implicit-def: $vgpr14_vgpr15
	s_and_saveexec_b64 s[18:19], vcc
	s_cbranch_execz .LBB0_37
; %bb.36:
	v_add_u32_e32 v8, 0x800, v99
	ds_read2_b64 v[12:15], v8 offset0:96 offset1:216
	v_add_u32_e32 v8, 0x1000, v99
	ds_read2_b64 v[0:3], v99 offset0:112 offset1:232
	ds_read2_b64 v[8:11], v8 offset0:80 offset1:200
	ds_read_b64 v[122:123], v99 offset:6656
.LBB0_37:
	s_or_b64 exec, exec, s[18:19]
	v_add_f64 v[108:109], v[70:71], v[84:85]
	v_fma_f64 v[108:109], -0.5, v[108:109], v[20:21]
	v_add_f64 v[90:91], v[90:91], -v[94:95]
	v_fma_f64 v[94:95], s[14:15], v[90:91], v[108:109]
	v_add_f64 v[86:87], v[86:87], -v[92:93]
	v_add_f64 v[92:93], v[78:79], -v[70:71]
	;; [unrolled: 1-line block ×3, first 2 shown]
	v_fmac_f64_e32 v[108:109], s[8:9], v[90:91]
	v_add_f64 v[106:107], v[20:21], v[78:79]
	v_fmac_f64_e32 v[94:95], s[16:17], v[86:87]
	v_add_f64 v[92:93], v[92:93], v[110:111]
	v_fmac_f64_e32 v[108:109], s[6:7], v[86:87]
	v_add_f64 v[106:107], v[106:107], v[70:71]
	v_fmac_f64_e32 v[94:95], s[12:13], v[92:93]
	v_fmac_f64_e32 v[108:109], s[12:13], v[92:93]
	v_add_f64 v[92:93], v[78:79], v[88:89]
	v_add_f64 v[70:71], v[70:71], -v[78:79]
	v_add_f64 v[78:79], v[84:85], -v[88:89]
	v_add_f64 v[70:71], v[70:71], v[78:79]
	v_add_f64 v[78:79], v[4:5], v[58:59]
	v_fma_f64 v[78:79], -0.5, v[78:79], v[22:23]
	v_add_f64 v[72:73], v[72:73], -v[80:81]
	v_add_f64 v[106:107], v[106:107], v[84:85]
	v_fma_f64 v[20:21], -0.5, v[92:93], v[20:21]
	v_fma_f64 v[80:81], s[14:15], v[72:73], v[78:79]
	v_add_f64 v[52:53], v[52:53], -v[76:77]
	v_add_f64 v[76:77], v[56:57], -v[4:5]
	;; [unrolled: 1-line block ×3, first 2 shown]
	v_fmac_f64_e32 v[78:79], s[8:9], v[72:73]
	v_fma_f64 v[92:93], s[8:9], v[86:87], v[20:21]
	v_fmac_f64_e32 v[20:21], s[14:15], v[86:87]
	v_fmac_f64_e32 v[80:81], s[16:17], v[52:53]
	v_add_f64 v[76:77], v[76:77], v[84:85]
	v_fmac_f64_e32 v[78:79], s[6:7], v[52:53]
	v_fmac_f64_e32 v[92:93], s[16:17], v[90:91]
	;; [unrolled: 1-line block ×5, first 2 shown]
	v_add_f64 v[76:77], v[56:57], v[62:63]
	v_fmac_f64_e32 v[92:93], s[12:13], v[70:71]
	v_fmac_f64_e32 v[20:21], s[12:13], v[70:71]
	v_add_f64 v[70:71], v[22:23], v[56:57]
	v_fmac_f64_e32 v[22:23], -0.5, v[76:77]
	v_add_f64 v[70:71], v[70:71], v[4:5]
	v_fma_f64 v[76:77], s[8:9], v[52:53], v[22:23]
	v_add_f64 v[4:5], v[4:5], -v[56:57]
	v_add_f64 v[56:57], v[58:59], -v[62:63]
	v_fmac_f64_e32 v[22:23], s[14:15], v[52:53]
	v_fmac_f64_e32 v[76:77], s[16:17], v[72:73]
	v_add_f64 v[4:5], v[4:5], v[56:57]
	v_fmac_f64_e32 v[22:23], s[6:7], v[72:73]
	v_fmac_f64_e32 v[76:77], s[12:13], v[4:5]
	;; [unrolled: 1-line block ×3, first 2 shown]
	v_add_f64 v[4:5], v[16:17], v[18:19]
	v_add_f64 v[4:5], v[4:5], v[54:55]
	;; [unrolled: 1-line block ×6, first 2 shown]
	v_fma_f64 v[4:5], -0.5, v[4:5], v[16:17]
	v_add_f64 v[56:57], v[66:67], -v[82:83]
	v_add_f64 v[70:71], v[70:71], v[62:63]
	v_fma_f64 v[58:59], s[14:15], v[56:57], v[4:5]
	v_add_f64 v[62:63], v[68:69], -v[74:75]
	v_add_f64 v[66:67], v[18:19], -v[54:55]
	;; [unrolled: 1-line block ×3, first 2 shown]
	v_fmac_f64_e32 v[4:5], s[8:9], v[56:57]
	v_fmac_f64_e32 v[58:59], s[16:17], v[62:63]
	v_add_f64 v[66:67], v[66:67], v[68:69]
	v_fmac_f64_e32 v[4:5], s[6:7], v[62:63]
	v_fmac_f64_e32 v[58:59], s[12:13], v[66:67]
	;; [unrolled: 1-line block ×3, first 2 shown]
	v_add_f64 v[66:67], v[18:19], v[64:65]
	v_fmac_f64_e32 v[16:17], -0.5, v[66:67]
	v_fma_f64 v[66:67], s[8:9], v[62:63], v[16:17]
	v_add_f64 v[18:19], v[54:55], -v[18:19]
	v_add_f64 v[54:55], v[60:61], -v[64:65]
	v_fmac_f64_e32 v[16:17], s[14:15], v[62:63]
	v_add_f64 v[18:19], v[18:19], v[54:55]
	v_fmac_f64_e32 v[16:17], s[6:7], v[56:57]
	v_add_f64 v[106:107], v[106:107], v[88:89]
	v_fmac_f64_e32 v[66:67], s[16:17], v[56:57]
	v_fmac_f64_e32 v[16:17], s[12:13], v[18:19]
	;; [unrolled: 1-line block ×3, first 2 shown]
	s_waitcnt lgkmcnt(0)
	; wave barrier
	s_waitcnt lgkmcnt(0)
	ds_write2_b64 v96, v[106:107], v[94:95] offset1:24
	ds_write2_b64 v96, v[92:93], v[20:21] offset0:48 offset1:72
	ds_write_b64 v96, v[108:109] offset:768
	ds_write2_b64 v97, v[70:71], v[80:81] offset1:24
	ds_write2_b64 v97, v[76:77], v[22:23] offset0:48 offset1:72
	ds_write_b64 v97, v[78:79] offset:768
	;; [unrolled: 3-line block ×3, first 2 shown]
	v_add_u32_e32 v16, 0x400, v99
	s_waitcnt lgkmcnt(0)
	; wave barrier
	s_waitcnt lgkmcnt(0)
	ds_read2_b64 v[52:55], v99 offset1:56
	ds_read2_b64 v[72:75], v99 offset0:120 offset1:176
	ds_read2_b64 v[64:67], v16 offset0:112 offset1:168
	v_add_u32_e32 v16, 0x800, v99
	v_add_u32_e32 v17, 0x1000, v99
	ds_read2_b64 v[60:63], v16 offset0:104 offset1:160
	ds_read2_b64 v[56:59], v101 offset0:96 offset1:152
	;; [unrolled: 1-line block ×4, first 2 shown]
                                        ; implicit-def: $vgpr124_vgpr125
                                        ; implicit-def: $vgpr18_vgpr19
                                        ; implicit-def: $vgpr22_vgpr23
	s_and_saveexec_b64 s[6:7], vcc
	s_cbranch_execz .LBB0_39
; %bb.38:
	ds_read2_b64 v[4:7], v99 offset0:112 offset1:232
	ds_read2_b64 v[20:23], v16 offset0:96 offset1:216
	;; [unrolled: 1-line block ×3, first 2 shown]
	ds_read_b64 v[124:125], v99 offset:6656
.LBB0_39:
	s_or_b64 exec, exec, s[6:7]
	s_and_saveexec_b64 s[6:7], s[0:1]
	s_cbranch_execz .LBB0_42
; %bb.40:
	v_mul_u32_u24_e32 v80, 6, v98
	v_lshlrev_b32_e32 v106, 4, v80
	global_load_dwordx4 v[80:83], v106, s[4:5] offset:1888
	global_load_dwordx4 v[96:99], v106, s[4:5] offset:1968
	;; [unrolled: 1-line block ×6, first 2 shown]
	v_mul_lo_u32 v106, s3, v104
	v_mad_u64_u32 v[126:127], s[0:1], s2, v104, 0
	v_mul_u32_u24_e32 v104, 6, v128
	v_mul_lo_u32 v105, s2, v105
	v_lshlrev_b32_e32 v116, 4, v104
	v_add3_u32 v127, v127, v105, v106
	global_load_dwordx4 v[104:107], v116, s[4:5] offset:1936
	global_load_dwordx4 v[108:111], v116, s[4:5] offset:1920
	;; [unrolled: 1-line block ×6, first 2 shown]
	s_mov_b32 s8, 0xaaaaaaaa
	s_mov_b32 s12, 0x37e14327
	;; [unrolled: 1-line block ×21, first 2 shown]
	s_movk_i32 s27, 0x78
	s_movk_i32 s0, 0x1000
	s_waitcnt vmcnt(11) lgkmcnt(5)
	v_mul_f64 v[116:117], v[74:75], v[82:83]
	s_waitcnt vmcnt(10) lgkmcnt(0)
	v_mul_f64 v[118:119], v[78:79], v[98:99]
	s_waitcnt vmcnt(9)
	v_mul_f64 v[142:143], v[58:59], v[86:87]
	s_waitcnt vmcnt(8)
	;; [unrolled: 2-line block ×4, first 2 shown]
	v_mul_f64 v[148:149], v[70:71], v[102:103]
	v_mul_f64 v[98:99], v[50:51], v[98:99]
	;; [unrolled: 1-line block ×7, first 2 shown]
	v_fmac_f64_e32 v[118:119], v[50:51], v[96:97]
	v_fma_f64 v[50:51], v[78:79], v[96:97], -v[98:99]
	v_fmac_f64_e32 v[116:117], v[46:47], v[80:81]
	v_fma_f64 v[46:47], v[74:75], v[80:81], -v[82:83]
	;; [unrolled: 2-line block ×3, first 2 shown]
	v_fmac_f64_e32 v[142:143], v[34:35], v[84:85]
	v_fmac_f64_e32 v[144:145], v[30:31], v[88:89]
	;; [unrolled: 1-line block ×3, first 2 shown]
	v_fma_f64 v[30:31], v[66:67], v[92:93], -v[94:95]
	v_fma_f64 v[34:35], v[62:63], v[88:89], -v[90:91]
	v_fma_f64 v[38:39], v[58:59], v[84:85], -v[86:87]
	v_add_f64 v[58:59], v[116:117], -v[118:119]
	v_add_f64 v[62:63], v[142:143], -v[144:145]
	;; [unrolled: 1-line block ×3, first 2 shown]
	v_add_f64 v[70:71], v[46:47], v[50:51]
	v_add_f64 v[74:75], v[30:31], v[42:43]
	;; [unrolled: 1-line block ×5, first 2 shown]
	v_add_f64 v[46:47], v[46:47], -v[50:51]
	v_add_f64 v[34:35], v[38:39], -v[34:35]
	v_add_f64 v[30:31], v[30:31], -v[42:43]
	v_add_f64 v[38:39], v[58:59], -v[62:63]
	v_add_f64 v[42:43], v[62:63], -v[66:67]
	v_add_f64 v[50:51], v[62:63], v[66:67]
	v_add_f64 v[62:63], v[70:71], v[74:75]
	v_add_f64 v[84:85], v[142:143], v[144:145]
	v_add_f64 v[90:91], v[80:81], v[82:83]
	v_add_f64 v[66:67], v[66:67], -v[58:59]
	v_add_f64 v[50:51], v[58:59], v[50:51]
	v_add_f64 v[58:59], v[78:79], v[62:63]
	v_add_f64 v[86:87], v[70:71], -v[78:79]
	v_add_f64 v[88:89], v[78:79], -v[74:75]
	v_add_f64 v[92:93], v[80:81], -v[84:85]
	v_add_f64 v[70:71], v[74:75], -v[70:71]
	v_add_f64 v[74:75], v[84:85], -v[82:83]
	v_add_f64 v[62:63], v[84:85], v[90:91]
	v_add_f64 v[84:85], v[54:55], v[58:59]
	v_add_f64 v[80:81], v[82:83], -v[80:81]
	v_add_f64 v[98:99], v[46:47], -v[34:35]
	;; [unrolled: 1-line block ×3, first 2 shown]
	v_add_f64 v[34:35], v[34:35], v[30:31]
	v_add_f64 v[82:83], v[26:27], v[62:63]
	v_mov_b64_e32 v[26:27], v[84:85]
	v_add_f64 v[30:31], v[30:31], -v[46:47]
	v_add_f64 v[34:35], v[46:47], v[34:35]
	v_fmac_f64_e32 v[26:27], s[8:9], v[58:59]
	v_mov_b64_e32 v[46:47], v[82:83]
	v_mul_f64 v[54:55], v[86:87], s[12:13]
	v_mul_f64 v[58:59], v[88:89], s[16:17]
	v_mul_f64 v[42:43], v[42:43], s[6:7]
	v_fmac_f64_e32 v[46:47], s[8:9], v[62:63]
	v_fma_f64 v[62:63], s[12:13], v[86:87], v[58:59]
	v_fma_f64 v[54:55], v[70:71], s[22:23], -v[54:55]
	v_fma_f64 v[58:59], v[70:71], s[24:25], -v[58:59]
	v_mul_f64 v[70:71], v[66:67], s[18:19]
	v_fma_f64 v[70:71], v[38:39], s[20:21], -v[70:71]
	v_fma_f64 v[38:39], s[2:3], v[38:39], v[42:43]
	v_fma_f64 v[42:43], v[66:67], s[18:19], -v[42:43]
	v_add_f64 v[62:63], v[62:63], v[26:27]
	v_add_f64 v[54:55], v[54:55], v[26:27]
	;; [unrolled: 1-line block ×3, first 2 shown]
	v_fmac_f64_e32 v[42:43], s[14:15], v[50:51]
	v_fmac_f64_e32 v[38:39], s[14:15], v[50:51]
	;; [unrolled: 1-line block ×3, first 2 shown]
	v_mul_f64 v[50:51], v[92:93], s[12:13]
	v_mul_f64 v[58:59], v[74:75], s[16:17]
	v_add_f64 v[88:89], v[26:27], -v[42:43]
	v_add_f64 v[96:97], v[42:43], v[26:27]
	v_mul_f64 v[26:27], v[30:31], s[18:19]
	v_fma_f64 v[66:67], s[12:13], v[92:93], v[58:59]
	v_mul_f64 v[74:75], v[94:95], s[6:7]
	v_fma_f64 v[50:51], v[80:81], s[22:23], -v[50:51]
	v_fma_f64 v[58:59], v[80:81], s[24:25], -v[58:59]
	;; [unrolled: 1-line block ×3, first 2 shown]
	v_add_f64 v[58:59], v[58:59], v[46:47]
	v_fma_f64 v[78:79], v[30:31], s[18:19], -v[74:75]
	v_fma_f64 v[30:31], s[2:3], v[98:99], v[74:75]
	v_add_f64 v[42:43], v[66:67], v[46:47]
	v_add_f64 v[46:47], v[50:51], v[46:47]
	v_fmac_f64_e32 v[26:27], s[14:15], v[34:35]
	v_fmac_f64_e32 v[78:79], s[14:15], v[34:35]
	;; [unrolled: 1-line block ×3, first 2 shown]
	v_add_f64 v[90:91], v[46:47], -v[26:27]
	v_add_f64 v[98:99], v[26:27], v[46:47]
	v_add_f64 v[80:81], v[38:39], v[62:63]
	v_add_f64 v[118:119], v[62:63], -v[38:39]
	s_waitcnt vmcnt(3)
	v_mul_f64 v[26:27], v[72:73], v[114:115]
	s_waitcnt vmcnt(1)
	v_mul_f64 v[38:39], v[76:77], v[136:137]
	v_add_f64 v[86:87], v[78:79], v[58:59]
	v_add_f64 v[94:95], v[58:59], -v[78:79]
	v_add_f64 v[78:79], v[42:43], -v[30:31]
	v_add_f64 v[116:117], v[30:31], v[42:43]
	v_fmac_f64_e32 v[26:27], v[44:45], v[112:113]
	v_fmac_f64_e32 v[38:39], v[48:49], v[134:135]
	v_mul_f64 v[30:31], v[48:49], v[136:137]
	v_mul_f64 v[48:49], v[56:57], v[106:107]
	;; [unrolled: 1-line block ×5, first 2 shown]
	s_waitcnt vmcnt(0)
	v_mul_f64 v[62:63], v[68:69], v[140:141]
	v_fmac_f64_e32 v[48:49], v[32:33], v[104:105]
	v_fmac_f64_e32 v[50:51], v[28:29], v[108:109]
	;; [unrolled: 1-line block ×4, first 2 shown]
	v_add_f64 v[42:43], v[26:27], -v[38:39]
	v_fma_f64 v[46:47], v[76:77], v[134:135], -v[30:31]
	v_add_f64 v[30:31], v[48:49], -v[50:51]
	v_add_f64 v[66:67], v[44:45], -v[62:63]
	v_add_f64 v[92:93], v[70:71], v[54:55]
	v_add_f64 v[100:101], v[54:55], -v[70:71]
	v_add_f64 v[54:55], v[42:43], -v[30:31]
	v_fma_f64 v[58:59], v[72:73], v[112:113], -v[34:35]
	v_add_f64 v[34:35], v[30:31], -v[66:67]
	v_add_f64 v[30:31], v[30:31], v[66:67]
	v_add_f64 v[74:75], v[42:43], v[30:31]
	v_mul_f64 v[30:31], v[40:41], v[140:141]
	v_fma_f64 v[68:69], v[68:69], v[138:139], -v[30:31]
	v_mul_f64 v[30:31], v[36:37], v[132:133]
	v_mul_f64 v[28:29], v[28:29], v[110:111]
	v_fma_f64 v[36:37], v[64:65], v[130:131], -v[30:31]
	v_fma_f64 v[60:61], v[60:61], v[108:109], -v[28:29]
	v_mul_f64 v[28:29], v[32:33], v[106:107]
	v_add_f64 v[40:41], v[58:59], v[46:47]
	v_add_f64 v[64:65], v[36:37], v[68:69]
	v_fma_f64 v[32:33], v[56:57], v[104:105], -v[28:29]
	v_add_f64 v[30:31], v[40:41], v[64:65]
	v_add_f64 v[28:29], v[32:33], v[60:61]
	v_mul_f64 v[70:71], v[34:35], s[6:7]
	v_add_f64 v[34:35], v[28:29], v[30:31]
	v_add_f64 v[30:31], v[52:53], v[34:35]
	v_mov_b64_e32 v[52:53], v[30:31]
	v_fmac_f64_e32 v[52:53], s[8:9], v[34:35]
	v_add_f64 v[34:35], v[40:41], -v[28:29]
	v_add_f64 v[28:29], v[28:29], -v[64:65]
	v_mul_f64 v[76:77], v[28:29], s[16:17]
	v_fma_f64 v[28:29], s[12:13], v[34:35], v[76:77]
	v_add_f64 v[26:27], v[26:27], v[38:39]
	v_add_f64 v[44:45], v[44:45], v[62:63]
	;; [unrolled: 1-line block ×7, first 2 shown]
	v_mov_b64_e32 v[24:25], v[28:29]
	v_fmac_f64_e32 v[24:25], s[8:9], v[48:49]
	v_add_f64 v[48:49], v[26:27], -v[38:39]
	v_add_f64 v[38:39], v[38:39], -v[44:45]
	v_mul_f64 v[62:63], v[38:39], s[16:17]
	v_mul_f64 v[50:51], v[48:49], s[12:13]
	v_fma_f64 v[38:39], s[12:13], v[48:49], v[62:63]
	v_add_f64 v[32:33], v[32:33], -v[60:61]
	v_add_f64 v[36:37], v[36:37], -v[68:69]
	;; [unrolled: 1-line block ×3, first 2 shown]
	v_add_f64 v[104:105], v[38:39], v[24:25]
	v_add_f64 v[46:47], v[58:59], -v[46:47]
	v_add_f64 v[38:39], v[32:33], -v[36:37]
	v_fma_f64 v[44:45], v[26:27], s[22:23], -v[50:51]
	v_add_f64 v[48:49], v[46:47], -v[32:33]
	v_mul_f64 v[58:59], v[38:39], s[6:7]
	v_add_f64 v[32:33], v[32:33], v[36:37]
	v_add_f64 v[42:43], v[66:67], -v[42:43]
	v_add_f64 v[40:41], v[64:65], -v[40:41]
	v_add_f64 v[64:65], v[44:45], v[24:25]
	v_add_f64 v[44:45], v[36:37], -v[46:47]
	v_fma_f64 v[26:27], v[26:27], s[24:25], -v[62:63]
	v_mul_f64 v[56:57], v[34:35], s[12:13]
	v_add_f64 v[68:69], v[46:47], v[32:33]
	v_mul_f64 v[38:39], v[42:43], s[18:19]
	v_add_f64 v[24:25], v[26:27], v[24:25]
	v_fma_f64 v[26:27], v[44:45], s[18:19], -v[58:59]
	v_fma_f64 v[72:73], s[2:3], v[54:55], v[70:71]
	v_fma_f64 v[54:55], v[54:55], s[20:21], -v[38:39]
	v_fma_f64 v[38:39], v[40:41], s[22:23], -v[56:57]
	;; [unrolled: 1-line block ×3, first 2 shown]
	v_fmac_f64_e32 v[26:27], s[14:15], v[68:69]
	v_mul_f64 v[36:37], v[44:45], s[18:19]
	v_add_f64 v[46:47], v[40:41], v[52:53]
	v_add_f64 v[40:41], v[26:27], v[24:25]
	v_add_f64 v[44:45], v[24:25], -v[26:27]
	v_mul_hi_u32 v24, v128, s26
	v_lshrrev_b32_e32 v24, 6, v24
	v_mul_lo_u32 v24, v24, s27
	v_fma_f64 v[50:51], v[42:43], s[18:19], -v[70:71]
	v_sub_u32_e32 v26, v128, v24
	v_lshl_add_u64 v[24:25], v[126:127], 4, s[10:11]
	v_fma_f64 v[60:61], s[2:3], v[48:49], v[58:59]
	v_fmac_f64_e32 v[54:55], s[14:15], v[74:75]
	v_add_f64 v[56:57], v[38:39], v[52:53]
	v_fma_f64 v[48:49], v[48:49], s[20:21], -v[36:37]
	v_fmac_f64_e32 v[50:51], s[14:15], v[74:75]
	v_lshl_add_u64 v[24:25], v[120:121], 4, v[24:25]
	v_lshlrev_b32_e32 v26, 4, v26
	v_mov_b32_e32 v27, 0
	v_fmac_f64_e32 v[72:73], s[14:15], v[74:75]
	v_fmac_f64_e32 v[60:61], s[14:15], v[68:69]
	v_add_f64 v[38:39], v[54:55], v[56:57]
	v_fmac_f64_e32 v[48:49], s[14:15], v[68:69]
	v_add_f64 v[42:43], v[46:47], -v[50:51]
	v_add_f64 v[46:47], v[50:51], v[46:47]
	v_add_f64 v[50:51], v[56:57], -v[54:55]
	v_lshl_add_u64 v[56:57], v[24:25], 0, v[26:27]
	v_add_f64 v[36:37], v[64:65], -v[48:49]
	v_add_f64 v[48:49], v[48:49], v[64:65]
	v_add_f64 v[54:55], v[102:103], -v[72:73]
	v_add_f64 v[52:53], v[60:61], v[104:105]
	global_store_dwordx4 v[56:57], v[28:31], off
	global_store_dwordx4 v[56:57], v[52:55], off offset:1920
	global_store_dwordx4 v[56:57], v[48:51], off offset:3840
	v_add_co_u32_e64 v28, s[0:1], s0, v56
	v_add_u32_e32 v26, 56, v128
	s_nop 0
	v_addc_co_u32_e64 v29, s[0:1], 0, v57, s[0:1]
	s_movk_i32 s0, 0x2000
	global_store_dwordx4 v[28:29], v[44:47], off offset:1664
	global_store_dwordx4 v[28:29], v[40:43], off offset:3584
	v_add_co_u32_e64 v28, s[0:1], s0, v56
	v_add_f64 v[34:35], v[72:73], v[102:103]
	s_nop 0
	v_addc_co_u32_e64 v29, s[0:1], 0, v57, s[0:1]
	v_add_f64 v[32:33], v[104:105], -v[60:61]
	global_store_dwordx4 v[28:29], v[36:39], off offset:1408
	global_store_dwordx4 v[28:29], v[32:35], off offset:3328
	v_mul_hi_u32 v28, v26, s26
	v_lshrrev_b32_e32 v28, 6, v28
	v_mul_lo_u32 v29, v28, s27
	v_sub_u32_e32 v26, v26, v29
	s_movk_i32 s0, 0x348
	v_mad_u64_u32 v[28:29], s[0:1], v28, s0, v[26:27]
	v_mov_b32_e32 v29, v27
	v_lshl_add_u64 v[30:31], v[28:29], 4, v[24:25]
	v_add_u32_e32 v26, 0x78, v28
	global_store_dwordx4 v[30:31], v[82:85], off
	v_lshl_add_u64 v[30:31], v[26:27], 4, v[24:25]
	v_add_u32_e32 v26, 0xf0, v28
	global_store_dwordx4 v[30:31], v[116:119], off
	;; [unrolled: 3-line block ×5, first 2 shown]
	v_lshl_add_u64 v[30:31], v[26:27], 4, v[24:25]
	v_add_u32_e32 v26, 0x2d0, v28
	v_lshl_add_u64 v[28:29], v[26:27], 4, v[24:25]
	global_store_dwordx4 v[28:29], v[78:81], off
	v_add_u32_e32 v28, 0x70, v128
	v_cmp_gt_u32_e64 s[0:1], s27, v28
	global_store_dwordx4 v[30:31], v[90:93], off
	s_and_b64 exec, exec, s[0:1]
	s_cbranch_execz .LBB0_42
; %bb.41:
	v_add_u32_e32 v26, -8, v128
	v_cndmask_b32_e32 v26, v26, v129, vcc
	v_mul_i32_i24_e32 v26, 6, v26
	v_lshl_add_u64 v[54:55], v[26:27], 4, s[4:5]
	global_load_dwordx4 v[30:33], v[54:55], off offset:1888
	global_load_dwordx4 v[34:37], v[54:55], off offset:1904
	;; [unrolled: 1-line block ×6, first 2 shown]
	v_mov_b32_e32 v29, v27
	v_lshl_add_u64 v[28:29], v[28:29], 4, v[24:25]
	v_add_u32_e32 v26, 0xe8, v128
	s_waitcnt vmcnt(5)
	v_mul_f64 v[54:55], v[6:7], v[32:33]
	v_mul_f64 v[32:33], v[2:3], v[32:33]
	s_waitcnt vmcnt(4)
	v_mul_f64 v[56:57], v[20:21], v[36:37]
	v_mul_f64 v[36:37], v[12:13], v[36:37]
	s_waitcnt vmcnt(3)
	v_mul_f64 v[58:59], v[22:23], v[40:41]
	s_waitcnt vmcnt(1)
	v_mul_f64 v[62:63], v[18:19], v[48:49]
	v_mul_f64 v[48:49], v[10:11], v[48:49]
	s_waitcnt vmcnt(0)
	v_mul_f64 v[64:65], v[124:125], v[52:53]
	v_mul_f64 v[52:53], v[122:123], v[52:53]
	;; [unrolled: 1-line block ×5, first 2 shown]
	v_fmac_f64_e32 v[54:55], v[2:3], v[30:31]
	v_fma_f64 v[2:3], v[6:7], v[30:31], -v[32:33]
	v_fmac_f64_e32 v[56:57], v[12:13], v[34:35]
	v_fma_f64 v[6:7], v[20:21], v[34:35], -v[36:37]
	v_fmac_f64_e32 v[58:59], v[14:15], v[38:39]
	v_fmac_f64_e32 v[62:63], v[10:11], v[46:47]
	v_fma_f64 v[10:11], v[18:19], v[46:47], -v[48:49]
	v_fmac_f64_e32 v[64:65], v[122:123], v[50:51]
	v_fma_f64 v[14:15], v[124:125], v[50:51], -v[52:53]
	v_fma_f64 v[12:13], v[22:23], v[38:39], -v[40:41]
	v_fmac_f64_e32 v[60:61], v[8:9], v[42:43]
	v_fma_f64 v[8:9], v[16:17], v[42:43], -v[44:45]
	v_add_f64 v[16:17], v[54:55], v[64:65]
	v_add_f64 v[18:19], v[2:3], v[14:15]
	v_add_f64 v[2:3], v[2:3], -v[14:15]
	v_add_f64 v[14:15], v[56:57], v[62:63]
	v_add_f64 v[22:23], v[6:7], v[10:11]
	v_add_f64 v[30:31], v[56:57], -v[62:63]
	v_add_f64 v[6:7], v[6:7], -v[10:11]
	v_add_f64 v[10:11], v[58:59], v[60:61]
	v_add_f64 v[32:33], v[12:13], v[8:9]
	v_add_f64 v[34:35], v[60:61], -v[58:59]
	;; [unrolled: 4-line block ×3, first 2 shown]
	v_add_f64 v[38:39], v[14:15], -v[16:17]
	v_add_f64 v[40:41], v[22:23], -v[18:19]
	;; [unrolled: 1-line block ×6, first 2 shown]
	v_add_f64 v[42:43], v[34:35], v[30:31]
	v_add_f64 v[44:45], v[8:9], v[6:7]
	v_add_f64 v[46:47], v[34:35], -v[30:31]
	v_add_f64 v[48:49], v[8:9], -v[6:7]
	;; [unrolled: 1-line block ×3, first 2 shown]
	v_add_f64 v[10:11], v[10:11], v[12:13]
	v_add_f64 v[12:13], v[32:33], v[36:37]
	v_add_f64 v[34:35], v[20:21], -v[34:35]
	v_add_f64 v[8:9], v[2:3], -v[8:9]
	;; [unrolled: 1-line block ×3, first 2 shown]
	v_add_f64 v[20:21], v[42:43], v[20:21]
	v_add_f64 v[32:33], v[44:45], v[2:3]
	v_mul_f64 v[16:17], v[16:17], s[12:13]
	v_mul_f64 v[18:19], v[18:19], s[12:13]
	;; [unrolled: 1-line block ×7, first 2 shown]
	v_add_f64 v[0:1], v[0:1], v[10:11]
	v_add_f64 v[2:3], v[4:5], v[12:13]
	v_mul_f64 v[48:49], v[30:31], s[18:19]
	v_fma_f64 v[4:5], s[16:17], v[14:15], v[16:17]
	v_fma_f64 v[14:15], v[38:39], s[24:25], -v[36:37]
	v_fma_f64 v[36:37], v[40:41], s[24:25], -v[42:43]
	;; [unrolled: 1-line block ×4, first 2 shown]
	v_fmac_f64_e32 v[18:19], s[16:17], v[22:23]
	v_fma_f64 v[22:23], v[30:31], s[18:19], -v[44:45]
	v_fma_f64 v[30:31], v[6:7], s[18:19], -v[46:47]
	v_fmac_f64_e32 v[46:47], s[2:3], v[8:9]
	v_fma_f64 v[42:43], v[8:9], s[20:21], -v[50:51]
	v_mov_b64_e32 v[6:7], v[0:1]
	v_mov_b64_e32 v[8:9], v[2:3]
	v_fma_f64 v[40:41], s[2:3], v[34:35], v[44:45]
	v_fmac_f64_e32 v[6:7], s[8:9], v[10:11]
	v_fmac_f64_e32 v[8:9], s[8:9], v[12:13]
	v_fma_f64 v[34:35], v[34:35], s[20:21], -v[48:49]
	v_add_f64 v[44:45], v[4:5], v[6:7]
	v_add_f64 v[48:49], v[18:19], v[8:9]
	v_fmac_f64_e32 v[40:41], s[14:15], v[20:21]
	v_fmac_f64_e32 v[46:47], s[14:15], v[32:33]
	v_add_f64 v[18:19], v[14:15], v[6:7]
	v_add_f64 v[50:51], v[16:17], v[6:7]
	;; [unrolled: 1-line block ×3, first 2 shown]
	v_fmac_f64_e32 v[34:35], s[14:15], v[20:21]
	v_fmac_f64_e32 v[42:43], s[14:15], v[32:33]
	v_add_f64 v[4:5], v[46:47], v[44:45]
	v_add_f64 v[6:7], v[48:49], -v[40:41]
	global_store_dwordx4 v[28:29], v[0:3], off
	v_add_f64 v[36:37], v[36:37], v[8:9]
	v_fmac_f64_e32 v[22:23], s[14:15], v[20:21]
	v_lshl_add_u64 v[0:1], v[26:27], 4, v[24:25]
	v_add_u32_e32 v26, 0x160, v128
	v_fmac_f64_e32 v[30:31], s[14:15], v[32:33]
	v_add_f64 v[8:9], v[42:43], v[50:51]
	v_add_f64 v[10:11], v[38:39], -v[34:35]
	global_store_dwordx4 v[0:1], v[4:7], off
	v_lshl_add_u64 v[0:1], v[26:27], 4, v[24:25]
	v_add_u32_e32 v26, 0x1d8, v128
	v_add_f64 v[12:13], v[18:19], -v[30:31]
	v_add_f64 v[14:15], v[22:23], v[36:37]
	global_store_dwordx4 v[0:1], v[8:11], off
	v_lshl_add_u64 v[0:1], v[26:27], 4, v[24:25]
	v_add_u32_e32 v26, 0x250, v128
	v_add_f64 v[16:17], v[30:31], v[18:19]
	v_add_f64 v[18:19], v[36:37], -v[22:23]
	global_store_dwordx4 v[0:1], v[12:15], off
	v_lshl_add_u64 v[0:1], v[26:27], 4, v[24:25]
	v_add_u32_e32 v26, 0x2c8, v128
	v_add_f64 v[20:21], v[50:51], -v[42:43]
	v_add_f64 v[22:23], v[34:35], v[38:39]
	global_store_dwordx4 v[0:1], v[16:19], off
	v_lshl_add_u64 v[0:1], v[26:27], 4, v[24:25]
	v_add_u32_e32 v26, 0x340, v128
	v_add_f64 v[30:31], v[44:45], -v[46:47]
	v_add_f64 v[32:33], v[40:41], v[48:49]
	global_store_dwordx4 v[0:1], v[20:23], off
	v_lshl_add_u64 v[0:1], v[26:27], 4, v[24:25]
	global_store_dwordx4 v[0:1], v[30:33], off
.LBB0_42:
	s_endpgm
	.section	.rodata,"a",@progbits
	.p2align	6, 0x0
	.amdhsa_kernel fft_rtc_back_len840_factors_2_2_2_3_5_7_wgs_56_tpt_56_halfLds_dp_op_CI_CI_unitstride_sbrr_dirReg
		.amdhsa_group_segment_fixed_size 0
		.amdhsa_private_segment_fixed_size 0
		.amdhsa_kernarg_size 104
		.amdhsa_user_sgpr_count 2
		.amdhsa_user_sgpr_dispatch_ptr 0
		.amdhsa_user_sgpr_queue_ptr 0
		.amdhsa_user_sgpr_kernarg_segment_ptr 1
		.amdhsa_user_sgpr_dispatch_id 0
		.amdhsa_user_sgpr_kernarg_preload_length 0
		.amdhsa_user_sgpr_kernarg_preload_offset 0
		.amdhsa_user_sgpr_private_segment_size 0
		.amdhsa_uses_dynamic_stack 0
		.amdhsa_enable_private_segment 0
		.amdhsa_system_sgpr_workgroup_id_x 1
		.amdhsa_system_sgpr_workgroup_id_y 0
		.amdhsa_system_sgpr_workgroup_id_z 0
		.amdhsa_system_sgpr_workgroup_info 0
		.amdhsa_system_vgpr_workitem_id 0
		.amdhsa_next_free_vgpr 150
		.amdhsa_next_free_sgpr 28
		.amdhsa_accum_offset 152
		.amdhsa_reserve_vcc 1
		.amdhsa_float_round_mode_32 0
		.amdhsa_float_round_mode_16_64 0
		.amdhsa_float_denorm_mode_32 3
		.amdhsa_float_denorm_mode_16_64 3
		.amdhsa_dx10_clamp 1
		.amdhsa_ieee_mode 1
		.amdhsa_fp16_overflow 0
		.amdhsa_tg_split 0
		.amdhsa_exception_fp_ieee_invalid_op 0
		.amdhsa_exception_fp_denorm_src 0
		.amdhsa_exception_fp_ieee_div_zero 0
		.amdhsa_exception_fp_ieee_overflow 0
		.amdhsa_exception_fp_ieee_underflow 0
		.amdhsa_exception_fp_ieee_inexact 0
		.amdhsa_exception_int_div_zero 0
	.end_amdhsa_kernel
	.text
.Lfunc_end0:
	.size	fft_rtc_back_len840_factors_2_2_2_3_5_7_wgs_56_tpt_56_halfLds_dp_op_CI_CI_unitstride_sbrr_dirReg, .Lfunc_end0-fft_rtc_back_len840_factors_2_2_2_3_5_7_wgs_56_tpt_56_halfLds_dp_op_CI_CI_unitstride_sbrr_dirReg
                                        ; -- End function
	.section	.AMDGPU.csdata,"",@progbits
; Kernel info:
; codeLenInByte = 11308
; NumSgprs: 34
; NumVgprs: 150
; NumAgprs: 0
; TotalNumVgprs: 150
; ScratchSize: 0
; MemoryBound: 1
; FloatMode: 240
; IeeeMode: 1
; LDSByteSize: 0 bytes/workgroup (compile time only)
; SGPRBlocks: 4
; VGPRBlocks: 18
; NumSGPRsForWavesPerEU: 34
; NumVGPRsForWavesPerEU: 150
; AccumOffset: 152
; Occupancy: 3
; WaveLimiterHint : 1
; COMPUTE_PGM_RSRC2:SCRATCH_EN: 0
; COMPUTE_PGM_RSRC2:USER_SGPR: 2
; COMPUTE_PGM_RSRC2:TRAP_HANDLER: 0
; COMPUTE_PGM_RSRC2:TGID_X_EN: 1
; COMPUTE_PGM_RSRC2:TGID_Y_EN: 0
; COMPUTE_PGM_RSRC2:TGID_Z_EN: 0
; COMPUTE_PGM_RSRC2:TIDIG_COMP_CNT: 0
; COMPUTE_PGM_RSRC3_GFX90A:ACCUM_OFFSET: 37
; COMPUTE_PGM_RSRC3_GFX90A:TG_SPLIT: 0
	.text
	.p2alignl 6, 3212836864
	.fill 256, 4, 3212836864
	.type	__hip_cuid_ebae514888522f63,@object ; @__hip_cuid_ebae514888522f63
	.section	.bss,"aw",@nobits
	.globl	__hip_cuid_ebae514888522f63
__hip_cuid_ebae514888522f63:
	.byte	0                               ; 0x0
	.size	__hip_cuid_ebae514888522f63, 1

	.ident	"AMD clang version 19.0.0git (https://github.com/RadeonOpenCompute/llvm-project roc-6.4.0 25133 c7fe45cf4b819c5991fe208aaa96edf142730f1d)"
	.section	".note.GNU-stack","",@progbits
	.addrsig
	.addrsig_sym __hip_cuid_ebae514888522f63
	.amdgpu_metadata
---
amdhsa.kernels:
  - .agpr_count:     0
    .args:
      - .actual_access:  read_only
        .address_space:  global
        .offset:         0
        .size:           8
        .value_kind:     global_buffer
      - .offset:         8
        .size:           8
        .value_kind:     by_value
      - .actual_access:  read_only
        .address_space:  global
        .offset:         16
        .size:           8
        .value_kind:     global_buffer
      - .actual_access:  read_only
        .address_space:  global
        .offset:         24
        .size:           8
        .value_kind:     global_buffer
      - .actual_access:  read_only
        .address_space:  global
        .offset:         32
        .size:           8
        .value_kind:     global_buffer
      - .offset:         40
        .size:           8
        .value_kind:     by_value
      - .actual_access:  read_only
        .address_space:  global
        .offset:         48
        .size:           8
        .value_kind:     global_buffer
      - .actual_access:  read_only
        .address_space:  global
        .offset:         56
        .size:           8
        .value_kind:     global_buffer
      - .offset:         64
        .size:           4
        .value_kind:     by_value
      - .actual_access:  read_only
        .address_space:  global
        .offset:         72
        .size:           8
        .value_kind:     global_buffer
      - .actual_access:  read_only
        .address_space:  global
        .offset:         80
        .size:           8
        .value_kind:     global_buffer
      - .actual_access:  read_only
        .address_space:  global
        .offset:         88
        .size:           8
        .value_kind:     global_buffer
      - .actual_access:  write_only
        .address_space:  global
        .offset:         96
        .size:           8
        .value_kind:     global_buffer
    .group_segment_fixed_size: 0
    .kernarg_segment_align: 8
    .kernarg_segment_size: 104
    .language:       OpenCL C
    .language_version:
      - 2
      - 0
    .max_flat_workgroup_size: 56
    .name:           fft_rtc_back_len840_factors_2_2_2_3_5_7_wgs_56_tpt_56_halfLds_dp_op_CI_CI_unitstride_sbrr_dirReg
    .private_segment_fixed_size: 0
    .sgpr_count:     34
    .sgpr_spill_count: 0
    .symbol:         fft_rtc_back_len840_factors_2_2_2_3_5_7_wgs_56_tpt_56_halfLds_dp_op_CI_CI_unitstride_sbrr_dirReg.kd
    .uniform_work_group_size: 1
    .uses_dynamic_stack: false
    .vgpr_count:     150
    .vgpr_spill_count: 0
    .wavefront_size: 64
amdhsa.target:   amdgcn-amd-amdhsa--gfx950
amdhsa.version:
  - 1
  - 2
...

	.end_amdgpu_metadata
